;; amdgpu-corpus repo=ROCm/rocFFT kind=compiled arch=gfx1030 opt=O3
	.text
	.amdgcn_target "amdgcn-amd-amdhsa--gfx1030"
	.amdhsa_code_object_version 6
	.protected	fft_rtc_fwd_len1782_factors_11_3_3_3_3_2_wgs_99_tpt_99_halfLds_half_ip_CI_unitstride_sbrr_R2C_dirReg ; -- Begin function fft_rtc_fwd_len1782_factors_11_3_3_3_3_2_wgs_99_tpt_99_halfLds_half_ip_CI_unitstride_sbrr_R2C_dirReg
	.globl	fft_rtc_fwd_len1782_factors_11_3_3_3_3_2_wgs_99_tpt_99_halfLds_half_ip_CI_unitstride_sbrr_R2C_dirReg
	.p2align	8
	.type	fft_rtc_fwd_len1782_factors_11_3_3_3_3_2_wgs_99_tpt_99_halfLds_half_ip_CI_unitstride_sbrr_R2C_dirReg,@function
fft_rtc_fwd_len1782_factors_11_3_3_3_3_2_wgs_99_tpt_99_halfLds_half_ip_CI_unitstride_sbrr_R2C_dirReg: ; @fft_rtc_fwd_len1782_factors_11_3_3_3_3_2_wgs_99_tpt_99_halfLds_half_ip_CI_unitstride_sbrr_R2C_dirReg
; %bb.0:
	s_clause 0x2
	s_load_dwordx4 s[8:11], s[4:5], 0x0
	s_load_dwordx2 s[2:3], s[4:5], 0x50
	s_load_dwordx2 s[12:13], s[4:5], 0x18
	v_mul_u32_u24_e32 v1, 0x296, v0
	v_mov_b32_e32 v3, 0
	v_add_nc_u32_sdwa v5, s6, v1 dst_sel:DWORD dst_unused:UNUSED_PAD src0_sel:DWORD src1_sel:WORD_1
	v_mov_b32_e32 v1, 0
	v_mov_b32_e32 v6, v3
	v_mov_b32_e32 v2, 0
	s_waitcnt lgkmcnt(0)
	v_cmp_lt_u64_e64 s0, s[10:11], 2
	s_and_b32 vcc_lo, exec_lo, s0
	s_cbranch_vccnz .LBB0_8
; %bb.1:
	s_load_dwordx2 s[0:1], s[4:5], 0x10
	v_mov_b32_e32 v1, 0
	s_add_u32 s6, s12, 8
	v_mov_b32_e32 v2, 0
	s_addc_u32 s7, s13, 0
	s_mov_b64 s[16:17], 1
	s_waitcnt lgkmcnt(0)
	s_add_u32 s14, s0, 8
	s_addc_u32 s15, s1, 0
.LBB0_2:                                ; =>This Inner Loop Header: Depth=1
	s_load_dwordx2 s[18:19], s[14:15], 0x0
                                        ; implicit-def: $vgpr7_vgpr8
	s_mov_b32 s0, exec_lo
	s_waitcnt lgkmcnt(0)
	v_or_b32_e32 v4, s19, v6
	v_cmpx_ne_u64_e32 0, v[3:4]
	s_xor_b32 s1, exec_lo, s0
	s_cbranch_execz .LBB0_4
; %bb.3:                                ;   in Loop: Header=BB0_2 Depth=1
	v_cvt_f32_u32_e32 v4, s18
	v_cvt_f32_u32_e32 v7, s19
	s_sub_u32 s0, 0, s18
	s_subb_u32 s20, 0, s19
	v_fmac_f32_e32 v4, 0x4f800000, v7
	v_rcp_f32_e32 v4, v4
	v_mul_f32_e32 v4, 0x5f7ffffc, v4
	v_mul_f32_e32 v7, 0x2f800000, v4
	v_trunc_f32_e32 v7, v7
	v_fmac_f32_e32 v4, 0xcf800000, v7
	v_cvt_u32_f32_e32 v7, v7
	v_cvt_u32_f32_e32 v4, v4
	v_mul_lo_u32 v8, s0, v7
	v_mul_hi_u32 v9, s0, v4
	v_mul_lo_u32 v10, s20, v4
	v_add_nc_u32_e32 v8, v9, v8
	v_mul_lo_u32 v9, s0, v4
	v_add_nc_u32_e32 v8, v8, v10
	v_mul_hi_u32 v10, v4, v9
	v_mul_lo_u32 v11, v4, v8
	v_mul_hi_u32 v12, v4, v8
	v_mul_hi_u32 v13, v7, v9
	v_mul_lo_u32 v9, v7, v9
	v_mul_hi_u32 v14, v7, v8
	v_mul_lo_u32 v8, v7, v8
	v_add_co_u32 v10, vcc_lo, v10, v11
	v_add_co_ci_u32_e32 v11, vcc_lo, 0, v12, vcc_lo
	v_add_co_u32 v9, vcc_lo, v10, v9
	v_add_co_ci_u32_e32 v9, vcc_lo, v11, v13, vcc_lo
	v_add_co_ci_u32_e32 v10, vcc_lo, 0, v14, vcc_lo
	v_add_co_u32 v8, vcc_lo, v9, v8
	v_add_co_ci_u32_e32 v9, vcc_lo, 0, v10, vcc_lo
	v_add_co_u32 v4, vcc_lo, v4, v8
	v_add_co_ci_u32_e32 v7, vcc_lo, v7, v9, vcc_lo
	v_mul_hi_u32 v8, s0, v4
	v_mul_lo_u32 v10, s20, v4
	v_mul_lo_u32 v9, s0, v7
	v_add_nc_u32_e32 v8, v8, v9
	v_mul_lo_u32 v9, s0, v4
	v_add_nc_u32_e32 v8, v8, v10
	v_mul_hi_u32 v10, v4, v9
	v_mul_lo_u32 v11, v4, v8
	v_mul_hi_u32 v12, v4, v8
	v_mul_hi_u32 v13, v7, v9
	v_mul_lo_u32 v9, v7, v9
	v_mul_hi_u32 v14, v7, v8
	v_mul_lo_u32 v8, v7, v8
	v_add_co_u32 v10, vcc_lo, v10, v11
	v_add_co_ci_u32_e32 v11, vcc_lo, 0, v12, vcc_lo
	v_add_co_u32 v9, vcc_lo, v10, v9
	v_add_co_ci_u32_e32 v9, vcc_lo, v11, v13, vcc_lo
	v_add_co_ci_u32_e32 v10, vcc_lo, 0, v14, vcc_lo
	v_add_co_u32 v8, vcc_lo, v9, v8
	v_add_co_ci_u32_e32 v9, vcc_lo, 0, v10, vcc_lo
	v_add_co_u32 v4, vcc_lo, v4, v8
	v_add_co_ci_u32_e32 v11, vcc_lo, v7, v9, vcc_lo
	v_mul_hi_u32 v13, v5, v4
	v_mad_u64_u32 v[9:10], null, v6, v4, 0
	v_mad_u64_u32 v[7:8], null, v5, v11, 0
	;; [unrolled: 1-line block ×3, first 2 shown]
	v_add_co_u32 v4, vcc_lo, v13, v7
	v_add_co_ci_u32_e32 v7, vcc_lo, 0, v8, vcc_lo
	v_add_co_u32 v4, vcc_lo, v4, v9
	v_add_co_ci_u32_e32 v4, vcc_lo, v7, v10, vcc_lo
	v_add_co_ci_u32_e32 v7, vcc_lo, 0, v12, vcc_lo
	v_add_co_u32 v4, vcc_lo, v4, v11
	v_add_co_ci_u32_e32 v9, vcc_lo, 0, v7, vcc_lo
	v_mul_lo_u32 v10, s19, v4
	v_mad_u64_u32 v[7:8], null, s18, v4, 0
	v_mul_lo_u32 v11, s18, v9
	v_sub_co_u32 v7, vcc_lo, v5, v7
	v_add3_u32 v8, v8, v11, v10
	v_sub_nc_u32_e32 v10, v6, v8
	v_subrev_co_ci_u32_e64 v10, s0, s19, v10, vcc_lo
	v_add_co_u32 v11, s0, v4, 2
	v_add_co_ci_u32_e64 v12, s0, 0, v9, s0
	v_sub_co_u32 v13, s0, v7, s18
	v_sub_co_ci_u32_e32 v8, vcc_lo, v6, v8, vcc_lo
	v_subrev_co_ci_u32_e64 v10, s0, 0, v10, s0
	v_cmp_le_u32_e32 vcc_lo, s18, v13
	v_cmp_eq_u32_e64 s0, s19, v8
	v_cndmask_b32_e64 v13, 0, -1, vcc_lo
	v_cmp_le_u32_e32 vcc_lo, s19, v10
	v_cndmask_b32_e64 v14, 0, -1, vcc_lo
	v_cmp_le_u32_e32 vcc_lo, s18, v7
	;; [unrolled: 2-line block ×3, first 2 shown]
	v_cndmask_b32_e64 v15, 0, -1, vcc_lo
	v_cmp_eq_u32_e32 vcc_lo, s19, v10
	v_cndmask_b32_e64 v7, v15, v7, s0
	v_cndmask_b32_e32 v10, v14, v13, vcc_lo
	v_add_co_u32 v13, vcc_lo, v4, 1
	v_add_co_ci_u32_e32 v14, vcc_lo, 0, v9, vcc_lo
	v_cmp_ne_u32_e32 vcc_lo, 0, v10
	v_cndmask_b32_e32 v8, v14, v12, vcc_lo
	v_cndmask_b32_e32 v10, v13, v11, vcc_lo
	v_cmp_ne_u32_e32 vcc_lo, 0, v7
	v_cndmask_b32_e32 v8, v9, v8, vcc_lo
	v_cndmask_b32_e32 v7, v4, v10, vcc_lo
.LBB0_4:                                ;   in Loop: Header=BB0_2 Depth=1
	s_andn2_saveexec_b32 s0, s1
	s_cbranch_execz .LBB0_6
; %bb.5:                                ;   in Loop: Header=BB0_2 Depth=1
	v_cvt_f32_u32_e32 v4, s18
	s_sub_i32 s1, 0, s18
	v_rcp_iflag_f32_e32 v4, v4
	v_mul_f32_e32 v4, 0x4f7ffffe, v4
	v_cvt_u32_f32_e32 v4, v4
	v_mul_lo_u32 v7, s1, v4
	v_mul_hi_u32 v7, v4, v7
	v_add_nc_u32_e32 v4, v4, v7
	v_mul_hi_u32 v4, v5, v4
	v_mul_lo_u32 v7, v4, s18
	v_add_nc_u32_e32 v8, 1, v4
	v_sub_nc_u32_e32 v7, v5, v7
	v_subrev_nc_u32_e32 v9, s18, v7
	v_cmp_le_u32_e32 vcc_lo, s18, v7
	v_cndmask_b32_e32 v7, v7, v9, vcc_lo
	v_cndmask_b32_e32 v4, v4, v8, vcc_lo
	v_cmp_le_u32_e32 vcc_lo, s18, v7
	v_add_nc_u32_e32 v8, 1, v4
	v_cndmask_b32_e32 v7, v4, v8, vcc_lo
	v_mov_b32_e32 v8, v3
.LBB0_6:                                ;   in Loop: Header=BB0_2 Depth=1
	s_or_b32 exec_lo, exec_lo, s0
	s_load_dwordx2 s[0:1], s[6:7], 0x0
	v_mul_lo_u32 v4, v8, s18
	v_mul_lo_u32 v11, v7, s19
	v_mad_u64_u32 v[9:10], null, v7, s18, 0
	s_add_u32 s16, s16, 1
	s_addc_u32 s17, s17, 0
	s_add_u32 s6, s6, 8
	s_addc_u32 s7, s7, 0
	;; [unrolled: 2-line block ×3, first 2 shown]
	v_add3_u32 v4, v10, v11, v4
	v_sub_co_u32 v5, vcc_lo, v5, v9
	v_sub_co_ci_u32_e32 v4, vcc_lo, v6, v4, vcc_lo
	s_waitcnt lgkmcnt(0)
	v_mul_lo_u32 v6, s1, v5
	v_mul_lo_u32 v4, s0, v4
	v_mad_u64_u32 v[1:2], null, s0, v5, v[1:2]
	v_cmp_ge_u64_e64 s0, s[16:17], s[10:11]
	s_and_b32 vcc_lo, exec_lo, s0
	v_add3_u32 v2, v6, v2, v4
	s_cbranch_vccnz .LBB0_9
; %bb.7:                                ;   in Loop: Header=BB0_2 Depth=1
	v_mov_b32_e32 v5, v7
	v_mov_b32_e32 v6, v8
	s_branch .LBB0_2
.LBB0_8:
	v_mov_b32_e32 v8, v6
	v_mov_b32_e32 v7, v5
.LBB0_9:
	s_lshl_b64 s[0:1], s[10:11], 3
	v_mul_hi_u32 v3, 0x295fad5, v0
	s_add_u32 s0, s12, s0
	s_addc_u32 s1, s13, s1
	s_load_dwordx2 s[0:1], s[0:1], 0x0
	s_load_dwordx2 s[4:5], s[4:5], 0x20
	v_mul_u32_u24_e32 v3, 0x63, v3
	v_sub_nc_u32_e32 v0, v0, v3
	s_waitcnt lgkmcnt(0)
	v_mul_lo_u32 v4, s0, v8
	v_mul_lo_u32 v5, s1, v7
	v_mad_u64_u32 v[1:2], null, s0, v7, v[1:2]
	v_cmp_gt_u64_e32 vcc_lo, s[4:5], v[7:8]
	v_cmp_le_u64_e64 s0, s[4:5], v[7:8]
	v_add3_u32 v2, v5, v2, v4
	v_add_nc_u32_e32 v4, 0x63, v0
	s_and_saveexec_b32 s1, s0
	s_xor_b32 s0, exec_lo, s1
; %bb.10:
	v_add_nc_u32_e32 v4, 0x63, v0
; %bb.11:
	s_or_saveexec_b32 s1, s0
	v_lshlrev_b64 v[2:3], 2, v[1:2]
	v_lshl_add_u32 v27, v0, 2, 0
	s_xor_b32 exec_lo, exec_lo, s1
	s_cbranch_execz .LBB0_13
; %bb.12:
	v_mov_b32_e32 v1, 0
	v_add_nc_u32_e32 v23, 0x400, v27
	v_add_nc_u32_e32 v24, 0x800, v27
	;; [unrolled: 1-line block ×4, first 2 shown]
	v_lshlrev_b64 v[5:6], 2, v[0:1]
	v_add_co_u32 v1, s0, s2, v2
	v_add_co_ci_u32_e64 v7, s0, s3, v3, s0
	v_add_nc_u32_e32 v28, 0x1200, v27
	v_add_co_u32 v5, s0, v1, v5
	v_add_co_ci_u32_e64 v6, s0, v7, v6, s0
	v_add_nc_u32_e32 v29, 0x1400, v27
	v_add_co_u32 v7, s0, 0x800, v5
	v_add_co_ci_u32_e64 v8, s0, 0, v6, s0
	v_add_co_u32 v9, s0, 0x1000, v5
	v_add_co_ci_u32_e64 v10, s0, 0, v6, s0
	s_clause 0x7
	global_load_dword v1, v[5:6], off
	global_load_dword v11, v[5:6], off offset:396
	global_load_dword v12, v[5:6], off offset:792
	;; [unrolled: 1-line block ×7, first 2 shown]
	v_add_co_u32 v5, s0, 0x1800, v5
	v_add_co_ci_u32_e64 v6, s0, 0, v6, s0
	s_clause 0x9
	global_load_dword v18, v[7:8], off offset:1120
	global_load_dword v19, v[7:8], off offset:1516
	;; [unrolled: 1-line block ×10, first 2 shown]
	v_add_nc_u32_e32 v6, 0x200, v27
	v_add_nc_u32_e32 v30, 0x1800, v27
	s_waitcnt vmcnt(16)
	ds_write2_b32 v27, v1, v11 offset1:99
	s_waitcnt vmcnt(14)
	ds_write2_b32 v6, v12, v13 offset0:70 offset1:169
	s_waitcnt vmcnt(12)
	ds_write2_b32 v23, v14, v15 offset0:140 offset1:239
	;; [unrolled: 2-line block ×8, first 2 shown]
.LBB0_13:
	s_or_b32 exec_lo, exec_lo, s1
	v_add_nc_u32_e32 v1, 0x200, v27
	v_add_nc_u32_e32 v28, 0x1800, v27
	s_waitcnt lgkmcnt(0)
	s_barrier
	buffer_gl0_inv
	ds_read2_b32 v[9:10], v1 offset0:34 offset1:133
	ds_read2_b32 v[7:8], v28 offset0:84 offset1:183
	ds_read2_b32 v[5:6], v27 offset1:99
	v_add_nc_u32_e32 v33, 0x400, v27
	v_add_nc_u32_e32 v12, 0x800, v27
	v_add_nc_u32_e32 v11, 0x600, v27
	v_add_nc_u32_e32 v29, 0x1400, v27
	v_add_nc_u32_e32 v30, 0x1600, v27
	ds_read2_b32 v[19:20], v33 offset0:68 offset1:167
	ds_read2_b32 v[17:18], v11 offset0:102 offset1:201
	;; [unrolled: 1-line block ×5, first 2 shown]
	v_mov_b32_e32 v36, 0xbbeb
	v_mov_b32_e32 v34, 0xba0c
	;; [unrolled: 1-line block ×3, first 2 shown]
	s_mov_b32 s1, exec_lo
	s_waitcnt lgkmcnt(6)
	v_pk_add_f16 v42, v9, v7 neg_lo:[0,1] neg_hi:[0,1]
	v_pk_add_f16 v43, v7, v9
	s_waitcnt lgkmcnt(5)
	v_pk_add_f16 v9, v5, v9
	v_mul_f16_e32 v24, 0xbb47, v42
	v_lshrrev_b32_e32 v23, 16, v43
	v_mul_f16_sdwa v25, v42, v36 dst_sel:DWORD dst_unused:UNUSED_PAD src0_sel:WORD_1 src1_sel:DWORD
	v_mul_f16_e32 v26, 0xbbeb, v42
	v_mul_f16_sdwa v31, v42, v34 dst_sel:DWORD dst_unused:UNUSED_PAD src0_sel:WORD_1 src1_sel:DWORD
	v_pk_mul_f16 v22, 0x3abb36a6, v43
	v_fmamk_f16 v37, v23, 0x36a6, v24
	v_fma_f16 v38, v43, 0xb08e, -v25
	v_mul_f16_e32 v45, 0xba0c, v42
	s_waitcnt lgkmcnt(0)
	v_pk_add_f16 v48, v11, v19
	v_mul_f16_sdwa v21, v42, v35 dst_sel:DWORD dst_unused:UNUSED_PAD src0_sel:WORD_1 src1_sel:DWORD
	v_add_f16_sdwa v40, v5, v37 dst_sel:DWORD dst_unused:UNUSED_PAD src0_sel:WORD_1 src1_sel:DWORD
	v_add_f16_e32 v41, v5, v38
	v_fmamk_f16 v37, v23, 0xb08e, v26
	v_fma_f16 v38, v43, 0xb93d, -v31
	v_pk_fma_f16 v44, 0xbb47b853, v42, v22 op_sel:[0,0,1] op_sel_hi:[1,1,0] neg_lo:[0,1,0] neg_hi:[0,1,0]
	v_pk_fma_f16 v22, 0xbb47b853, v42, v22 op_sel:[0,0,1] op_sel_hi:[1,1,0]
	v_fma_f16 v24, v23, 0x36a6, -v24
	v_fma_f16 v26, v23, 0xb08e, -v26
	v_add_f16_sdwa v46, v5, v37 dst_sel:DWORD dst_unused:UNUSED_PAD src0_sel:WORD_1 src1_sel:DWORD
	v_add_f16_e32 v47, v5, v38
	v_fmamk_f16 v38, v23, 0xb93d, v45
	v_fma_f16 v23, v23, 0xb93d, -v45
	v_pk_add_f16 v45, v19, v11 neg_lo:[0,1] neg_hi:[0,1]
	v_mov_b32_e32 v37, 0xbb47
	v_pk_mul_f16 v49, 0x36a6b93d, v48
	v_fma_f16 v32, v43, 0x3abb, -v21
	v_fmac_f16_e32 v21, 0x3abb, v43
	v_bfi_b32 v39, 0xffff, v22, v44
	v_mul_f16_sdwa v51, v45, v37 dst_sel:DWORD dst_unused:UNUSED_PAD src0_sel:WORD_1 src1_sel:DWORD
	v_pk_fma_f16 v52, 0xba0cbb47, v45, v49 op_sel:[0,0,1] op_sel_hi:[1,1,0] neg_lo:[0,1,0] neg_hi:[0,1,0]
	v_pk_fma_f16 v49, 0xba0cbb47, v45, v49 op_sel:[0,0,1] op_sel_hi:[1,1,0]
	v_add_f16_e32 v21, v5, v21
	v_alignbit_b32 v22, s0, v22, 16
	v_pk_add_f16 v39, v5, v39 op_sel:[1,0] op_sel_hi:[0,1]
	v_add_f16_sdwa v50, v5, v38 dst_sel:DWORD dst_unused:UNUSED_PAD src0_sel:WORD_1 src1_sel:DWORD
	v_lshrrev_b32_e32 v53, 16, v48
	v_mul_f16_e32 v54, 0xba0c, v45
	v_fma_f16 v55, v48, 0x36a6, -v51
	v_fmac_f16_e32 v51, 0x36a6, v48
	v_bfi_b32 v56, 0xffff, v49, v52
	v_mov_b32_e32 v38, 0x3482
	v_add_f16_e32 v32, v5, v32
	v_pk_add_f16 v22, v5, v22
	v_fmamk_f16 v57, v53, 0xb93d, v54
	v_add_f16_e32 v21, v51, v21
	v_pk_add_f16 v39, v56, v39
	v_mul_f16_sdwa v51, v45, v38 dst_sel:DWORD dst_unused:UNUSED_PAD src0_sel:WORD_1 src1_sel:DWORD
	v_alignbit_b32 v49, s0, v49, 16
	v_mul_f16_e32 v56, 0x3482, v45
	v_add_f16_sdwa v24, v5, v24 dst_sel:DWORD dst_unused:UNUSED_PAD src0_sel:WORD_1 src1_sel:DWORD
	v_fmac_f16_e32 v25, 0xb08e, v43
	v_add_f16_sdwa v26, v5, v26 dst_sel:DWORD dst_unused:UNUSED_PAD src0_sel:WORD_1 src1_sel:DWORD
	v_add_f16_e32 v32, v55, v32
	v_add_f16_e32 v55, v57, v40
	v_fma_f16 v54, v53, 0xb93d, -v54
	v_fma_f16 v57, v48, 0xbbad, -v51
	v_mov_b32_e32 v40, 0x3beb
	v_pk_add_f16 v49, v49, v22
	v_fmamk_f16 v22, v53, 0xbbad, v56
	v_fma_f16 v56, v53, 0xbbad, -v56
	v_add_f16_e32 v25, v5, v25
	v_fmac_f16_e32 v31, 0xb93d, v43
	v_add_f16_e32 v24, v54, v24
	v_add_f16_e32 v54, v57, v41
	v_mul_f16_sdwa v41, v45, v40 dst_sel:DWORD dst_unused:UNUSED_PAD src0_sel:WORD_1 src1_sel:DWORD
	v_fmac_f16_e32 v51, 0xbbad, v48
	v_add_f16_e32 v46, v22, v46
	v_mul_f16_e32 v22, 0x3beb, v45
	v_add_f16_e32 v26, v56, v26
	v_pk_add_f16 v56, v17, v13 neg_lo:[0,1] neg_hi:[0,1]
	v_add_f16_e32 v31, v5, v31
	v_add_f16_sdwa v23, v5, v23 dst_sel:DWORD dst_unused:UNUSED_PAD src0_sel:WORD_1 src1_sel:DWORD
	v_fma_f16 v57, v48, 0xb08e, -v41
	v_add_f16_e32 v25, v51, v25
	v_pk_add_f16 v51, v13, v17
	v_fmamk_f16 v58, v53, 0xb08e, v22
	v_fmac_f16_e32 v41, 0xb08e, v48
	v_fma_f16 v22, v53, 0xb08e, -v22
	v_mul_f16_sdwa v53, v56, v36 dst_sel:DWORD dst_unused:UNUSED_PAD src0_sel:WORD_1 src1_sel:DWORD
	v_add_f16_e32 v47, v57, v47
	v_pk_mul_f16 v57, 0xb08ebbad, v51
	v_add_f16_e32 v59, v41, v31
	v_add_f16_e32 v23, v22, v23
	v_fma_f16 v22, v51, 0xb08e, -v53
	v_fmac_f16_e32 v53, 0xb08e, v51
	v_add_nc_u32_e32 v31, 0x1000, v27
	v_add_f16_e32 v50, v58, v50
	v_pk_fma_f16 v58, 0x3482bbeb, v56, v57 op_sel:[0,0,1] op_sel_hi:[1,1,0] neg_lo:[0,1,0] neg_hi:[0,1,0]
	v_pk_fma_f16 v57, 0x3482bbeb, v56, v57 op_sel:[0,0,1] op_sel_hi:[1,1,0]
	v_add_f16_e32 v32, v22, v32
	v_add_f16_e32 v53, v53, v21
	ds_read2_b32 v[21:22], v31 offset0:110 offset1:209
	v_lshrrev_b32_e32 v61, 16, v51
	v_bfi_b32 v60, 0xffff, v57, v58
	v_mul_f16_e32 v62, 0x3482, v56
	v_mov_b32_e32 v41, 0x3b47
	v_alignbit_b32 v57, s0, v57, 16
	v_mul_f16_e32 v64, 0x3b47, v56
	v_pk_add_f16 v39, v60, v39
	v_fmamk_f16 v60, v61, 0xbbad, v62
	v_mul_f16_sdwa v63, v56, v41 dst_sel:DWORD dst_unused:UNUSED_PAD src0_sel:WORD_1 src1_sel:DWORD
	v_fma_f16 v62, v61, 0xbbad, -v62
	v_pk_add_f16 v49, v57, v49
	v_fmamk_f16 v57, v61, 0x36a6, v64
	v_add_f16_e32 v55, v60, v55
	v_fma_f16 v60, v51, 0x36a6, -v63
	v_add_f16_e32 v62, v62, v24
	v_mul_f16_sdwa v24, v56, v35 dst_sel:DWORD dst_unused:UNUSED_PAD src0_sel:WORD_1 src1_sel:DWORD
	v_fmac_f16_e32 v63, 0x36a6, v51
	v_add_f16_e32 v46, v57, v46
	v_add_f16_e32 v54, v60, v54
	v_fma_f16 v57, v61, 0x36a6, -v64
	v_fma_f16 v60, v51, 0x3abb, -v24
	v_mul_f16_e32 v64, 0xb853, v56
	s_waitcnt lgkmcnt(0)
	v_pk_add_f16 v65, v15, v21 neg_lo:[0,1] neg_hi:[0,1]
	v_pk_add_f16 v66, v21, v15
	v_add_f16_e32 v63, v63, v25
	v_add_f16_e32 v57, v57, v26
	;; [unrolled: 1-line block ×3, first 2 shown]
	v_fmamk_f16 v25, v61, 0x3abb, v64
	v_mul_f16_sdwa v26, v65, v34 dst_sel:DWORD dst_unused:UNUSED_PAD src0_sel:WORD_1 src1_sel:DWORD
	v_pk_mul_f16 v60, 0xb93db08e, v66
	v_fma_f16 v61, v61, 0x3abb, -v64
	v_fmac_f16_e32 v24, 0x3abb, v51
	v_add_f16_e32 v50, v25, v50
	v_fma_f16 v25, v66, 0xb93d, -v26
	v_pk_fma_f16 v64, 0x3bebba0c, v65, v60 op_sel:[0,0,1] op_sel_hi:[1,1,0] neg_lo:[0,1,0] neg_hi:[0,1,0]
	v_pk_fma_f16 v60, 0x3bebba0c, v65, v60 op_sel:[0,0,1] op_sel_hi:[1,1,0]
	v_add_f16_e32 v59, v24, v59
	v_add_f16_e32 v61, v61, v23
	v_fmac_f16_e32 v26, 0xb93d, v66
	v_add_f16_e32 v67, v25, v32
	v_bfi_b32 v23, 0xffff, v60, v64
	v_lshrrev_b32_e32 v68, 16, v66
	v_mul_f16_e32 v24, 0x3beb, v65
	v_add_nc_u32_e32 v25, 0xe00, v27
	v_add_nc_u32_e32 v32, 0xc00, v27
	v_add_f16_e32 v53, v26, v53
	v_pk_add_f16 v69, v23, v39
	v_fmamk_f16 v70, v68, 0xb08e, v24
	v_fma_f16 v71, v68, 0xb08e, -v24
	ds_read2_b32 v[23:24], v25 offset0:76 offset1:175
	ds_read2_b32 v[25:26], v32 offset0:42 offset1:141
	v_mul_f16_sdwa v72, v65, v35 dst_sel:DWORD dst_unused:UNUSED_PAD src0_sel:WORD_1 src1_sel:DWORD
	v_mov_b32_e32 v39, 0xb482
	v_mul_f16_e32 v74, 0xb482, v65
	v_add_f16_sdwa v44, v5, v44 dst_sel:DWORD dst_unused:UNUSED_PAD src0_sel:WORD_1 src1_sel:DWORD
	v_add_f16_e32 v55, v70, v55
	v_fma_f16 v73, v66, 0x3abb, -v72
	v_fmac_f16_e32 v72, 0x3abb, v66
	v_mul_f16_e32 v70, 0xb853, v65
	v_add_f16_e32 v62, v71, v62
	v_mul_f16_sdwa v71, v65, v39 dst_sel:DWORD dst_unused:UNUSED_PAD src0_sel:WORD_1 src1_sel:DWORD
	v_add_f16_e32 v54, v73, v54
	v_fmamk_f16 v73, v68, 0xbbad, v74
	v_add_f16_e32 v63, v72, v63
	v_add_f16_e32 v44, v52, v44
	v_fmamk_f16 v75, v68, 0x3abb, v70
	v_fma_f16 v76, v66, 0xbbad, -v71
	v_add_f16_e32 v50, v73, v50
	v_fma_f16 v70, v68, 0x3abb, -v70
	v_fmac_f16_e32 v71, 0xbbad, v66
	s_waitcnt lgkmcnt(0)
	v_pk_add_f16 v72, v25, v23 neg_lo:[0,1] neg_hi:[0,1]
	v_pk_add_f16 v52, v23, v25
	v_fma_f16 v68, v68, 0xbbad, -v74
	v_add_f16_e32 v44, v58, v44
	v_add_f16_e32 v46, v75, v46
	v_mul_f16_sdwa v73, v72, v39 dst_sel:DWORD dst_unused:UNUSED_PAD src0_sel:WORD_1 src1_sel:DWORD
	v_pk_mul_f16 v58, 0xbbad3abb, v52
	v_add_f16_e32 v59, v71, v59
	v_add_f16_e32 v61, v68, v61
	;; [unrolled: 1-line block ×3, first 2 shown]
	v_fma_f16 v68, v52, 0xbbad, -v73
	v_fmac_f16_e32 v73, 0xbbad, v52
	v_pk_fma_f16 v64, 0x3853b482, v72, v58 op_sel:[0,0,1] op_sel_hi:[1,1,0] neg_lo:[0,1,0] neg_hi:[0,1,0]
	v_pk_fma_f16 v71, 0x3853b482, v72, v58 op_sel:[0,0,1] op_sel_hi:[1,1,0]
	v_lshrrev_b32_e32 v74, 16, v52
	v_mul_f16_e32 v75, 0x3853, v72
	v_add_f16_e32 v67, v68, v67
	v_add_f16_e32 v53, v73, v53
	v_bfi_b32 v68, 0xffff, v71, v64
	v_add_f16_e32 v44, v64, v44
	v_fmamk_f16 v64, v74, 0x3abb, v75
	v_fma_f16 v71, v74, 0x3abb, -v75
	v_mul_f16_sdwa v73, v72, v34 dst_sel:DWORD dst_unused:UNUSED_PAD src0_sel:WORD_1 src1_sel:DWORD
	v_mul_f16_e32 v75, 0xb93d, v74
	v_add_f16_e32 v47, v76, v47
	v_pk_add_f16 v68, v68, v69
	v_add_f16_e32 v55, v64, v55
	v_add_f16_e32 v62, v71, v62
	v_fma_f16 v64, v52, 0xb93d, -v73
	v_fmamk_f16 v69, v72, 0xba0c, v75
	v_mul_f16_sdwa v71, v72, v41 dst_sel:DWORD dst_unused:UNUSED_PAD src0_sel:WORD_1 src1_sel:DWORD
	v_mul_f16_e32 v76, 0x3b47, v72
	v_pk_mul_f16 v43, 0xbbad, v43 op_sel_hi:[0,1]
	v_add_f16_e32 v54, v64, v54
	v_add_f16_e32 v46, v69, v46
	v_fma_f16 v64, v52, 0x36a6, -v71
	v_fmamk_f16 v69, v74, 0x36a6, v76
	v_pk_add_f16 v9, v9, v19
	v_pk_mul_f16 v48, 0x3abb, v48 op_sel_hi:[0,1]
	v_alignbit_b32 v55, v55, v68, 16
	v_add_f16_e32 v47, v64, v47
	v_add_f16_e32 v50, v69, v50
	v_pk_fma_f16 v64, 0xb482, v42, v43 op_sel:[0,0,1] op_sel_hi:[0,1,0] neg_lo:[0,1,0] neg_hi:[0,1,0]
	v_pk_add_f16 v9, v9, v17
	v_pack_b32_f16 v67, v67, v68
	v_pk_fma_f16 v42, 0xb482, v42, v43 op_sel:[0,0,1] op_sel_hi:[0,1,0]
	v_pack_b32_f16 v47, v47, v50
	v_alignbit_b32 v50, s0, v5, 16
	v_alignbit_b32 v68, s0, v64, 16
	v_pk_fma_f16 v43, 0x3853, v45, v48 op_sel:[0,0,1] op_sel_hi:[0,1,0] neg_lo:[0,1,0] neg_hi:[0,1,0]
	v_pk_add_f16 v9, v9, v15
	v_pk_mul_f16 v51, 0xb93d, v51 op_sel_hi:[0,1]
	v_pk_add_f16 v50, v50, v64
	v_pk_add_f16 v64, v5, v68
	v_alignbit_b32 v19, s0, v43, 16
	v_pk_fma_f16 v45, 0x3853, v45, v48 op_sel:[0,0,1] op_sel_hi:[0,1,0]
	v_pk_add_f16 v5, v5, v42 op_sel:[1,0] op_sel_hi:[0,1]
	v_pk_add_f16 v9, v9, v25
	v_pk_fma_f16 v42, 0xba0c, v56, v51 op_sel:[0,0,1] op_sel_hi:[0,1,0] neg_lo:[0,1,0] neg_hi:[0,1,0]
	v_pk_add_f16 v17, v19, v64
	v_pk_mul_f16 v19, 0x36a6, v66 op_sel_hi:[0,1]
	v_pk_add_f16 v5, v45, v5
	v_pk_fma_f16 v15, 0xba0c, v56, v51 op_sel:[0,0,1] op_sel_hi:[0,1,0]
	v_pk_add_f16 v43, v43, v50
	v_pk_add_f16 v9, v9, v23
	v_alignbit_b32 v45, s0, v42, 16
	v_pk_fma_f16 v48, 0x3b47, v65, v19 op_sel:[0,0,1] op_sel_hi:[0,1,0] neg_lo:[0,1,0] neg_hi:[0,1,0]
	v_pk_add_f16 v5, v15, v5
	v_pk_fma_f16 v19, 0x3b47, v65, v19 op_sel:[0,0,1] op_sel_hi:[0,1,0]
	v_pk_add_f16 v23, v42, v43
	v_pk_add_f16 v9, v9, v21
	;; [unrolled: 1-line block ×3, first 2 shown]
	v_alignbit_b32 v15, s0, v48, 16
	v_pk_add_f16 v5, v19, v5
	v_pk_add_f16 v19, v48, v23
	v_pk_mul_f16 v23, 0xb08e, v52 op_sel_hi:[0,1]
	v_pk_add_f16 v9, v9, v13
	v_mul_f16_e32 v13, 0xba0c, v72
	v_lshlrev_b32_e32 v25, 16, v49
	v_pk_add_f16 v15, v15, v17
	v_pk_mul_f16 v17, 0x3853b482, v72
	v_pk_fma_f16 v42, 0xbbeb, v72, v23 op_sel:[0,0,1] op_sel_hi:[0,1,0] neg_lo:[0,1,0] neg_hi:[0,1,0]
	v_pk_add_f16 v9, v9, v11
	v_pk_add_f16 v11, v75, v13 neg_lo:[0,1] neg_hi:[0,1]
	v_pk_add_f16 v13, v60, v25
	v_fmac_f16_e32 v73, 0xb93d, v52
	v_pack_b32_f16 v21, v70, v58
	v_bfi_b32 v17, 0xffff, v57, v17
	v_pk_fma_f16 v23, 0xbbeb, v72, v23 op_sel:[0,0,1] op_sel_hi:[0,1,0]
	v_pk_add_f16 v7, v9, v7
	v_bfi_b32 v9, 0xffff, v11, v13
	v_alignbit_b32 v11, s0, v42, 16
	v_add_f16_e32 v63, v73, v63
	v_fmac_f16_e32 v71, 0x36a6, v52
	v_fma_f16 v73, v74, 0x36a6, -v76
	v_pk_add_f16 v17, v21, v17
	v_pk_add_f16 v5, v23, v5
	;; [unrolled: 1-line block ×4, first 2 shown]
	v_add_f16_e32 v59, v71, v59
	v_add_f16_e32 v61, v73, v61
	v_pk_add_f16 v9, v9, v17
	v_pack_b32_f16 v45, v54, v46
	v_mad_u32_u24 v25, v0, 40, v27
	v_alignbit_b32 v13, v13, v5, 16
	v_pack_b32_f16 v5, v11, v5
	v_pack_b32_f16 v11, v59, v61
	v_alignbit_b32 v15, v62, v9, 16
	v_pack_b32_f16 v9, v63, v9
	v_pack_b32_f16 v17, v53, v44
	s_barrier
	buffer_gl0_inv
	ds_write2_b32 v25, v67, v55 offset0:1 offset1:2
	ds_write2_b32 v25, v45, v47 offset0:3 offset1:4
	;; [unrolled: 1-line block ×3, first 2 shown]
	ds_write2_b32 v25, v7, v11 offset1:7
	ds_write2_b32 v25, v9, v15 offset0:8 offset1:9
	ds_write_b32 v25, v17 offset:40
	v_cmpx_gt_u32_e32 63, v0
	s_cbranch_execz .LBB0_15
; %bb.14:
	v_pk_add_f16 v5, v6, v10
	v_pk_add_f16 v7, v8, v10
	v_pk_add_f16 v9, v10, v8 neg_lo:[0,1] neg_hi:[0,1]
	v_pk_add_f16 v10, v12, v20
	v_pk_add_f16 v11, v20, v12 neg_lo:[0,1] neg_hi:[0,1]
	v_pk_add_f16 v5, v5, v20
	v_lshrrev_b32_e32 v23, 16, v7
	v_mul_f16_e32 v21, 0xba0c, v9
	v_pk_add_f16 v13, v14, v18
	v_pk_add_f16 v15, v18, v14 neg_lo:[0,1] neg_hi:[0,1]
	v_pk_add_f16 v5, v5, v18
	v_pk_add_f16 v17, v22, v16
	v_pk_add_f16 v19, v16, v22 neg_lo:[0,1] neg_hi:[0,1]
	v_lshrrev_b32_e32 v42, 16, v10
	v_fmamk_f16 v47, v23, 0xb93d, v21
	v_pk_add_f16 v5, v5, v16
	v_mul_f16_e32 v16, 0x3beb, v11
	v_mul_f16_e32 v43, 0xb853, v15
	v_lshrrev_b32_e32 v44, 16, v13
	v_mul_f16_sdwa v48, v9, v34 dst_sel:DWORD dst_unused:UNUSED_PAD src0_sel:WORD_1 src1_sel:DWORD
	v_pk_add_f16 v5, v5, v26
	v_fmamk_f16 v49, v42, 0xb08e, v16
	v_add_f16_sdwa v47, v6, v47 dst_sel:DWORD dst_unused:UNUSED_PAD src0_sel:WORD_1 src1_sel:DWORD
	v_pk_add_f16 v18, v24, v26
	v_pk_add_f16 v20, v26, v24 neg_lo:[0,1] neg_hi:[0,1]
	v_pk_add_f16 v5, v5, v24
	v_mul_f16_e32 v26, 0xb482, v19
	v_lshrrev_b32_e32 v45, 16, v17
	v_fma_f16 v50, v7, 0xb93d, -v48
	v_add_f16_e32 v47, v49, v47
	v_pk_add_f16 v5, v5, v22
	v_mul_f16_sdwa v22, v11, v40 dst_sel:DWORD dst_unused:UNUSED_PAD src0_sel:WORD_1 src1_sel:DWORD
	v_fmamk_f16 v40, v44, 0x3abb, v43
	v_mul_f16_e32 v46, 0x3b47, v20
	v_lshrrev_b32_e32 v24, 16, v18
	v_pk_add_f16 v5, v5, v14
	v_fmamk_f16 v14, v45, 0xbbad, v26
	v_fma_f16 v49, v10, 0xb08e, -v22
	v_add_f16_e32 v50, v6, v50
	v_add_f16_e32 v40, v40, v47
	v_pk_add_f16 v5, v5, v12
	v_mul_f16_sdwa v12, v15, v35 dst_sel:DWORD dst_unused:UNUSED_PAD src0_sel:WORD_1 src1_sel:DWORD
	v_mul_f16_e32 v47, 0xbbeb, v9
	v_add_f16_e32 v49, v49, v50
	v_add_f16_e32 v14, v14, v40
	v_pk_add_f16 v5, v5, v8
	v_fma_f16 v8, v13, 0x3abb, -v12
	v_mul_f16_sdwa v40, v19, v39 dst_sel:DWORD dst_unused:UNUSED_PAD src0_sel:WORD_1 src1_sel:DWORD
	v_fmamk_f16 v50, v23, 0xb08e, v47
	v_mul_f16_e32 v51, 0x3482, v11
	v_fmamk_f16 v52, v24, 0x36a6, v46
	v_add_f16_e32 v8, v8, v49
	v_fma_f16 v49, v17, 0xbbad, -v40
	v_add_f16_sdwa v50, v6, v50 dst_sel:DWORD dst_unused:UNUSED_PAD src0_sel:WORD_1 src1_sel:DWORD
	v_fmamk_f16 v53, v42, 0xbbad, v51
	v_mul_f16_e32 v54, 0x3b47, v15
	v_add_f16_e32 v14, v52, v14
	v_mul_f16_sdwa v52, v9, v36 dst_sel:DWORD dst_unused:UNUSED_PAD src0_sel:WORD_1 src1_sel:DWORD
	v_add_f16_e32 v8, v49, v8
	v_add_f16_e32 v49, v53, v50
	v_fmamk_f16 v50, v44, 0x36a6, v54
	v_mul_f16_e32 v53, 0xb853, v19
	v_fma_f16 v55, v7, 0xb08e, -v52
	v_mul_f16_sdwa v38, v11, v38 dst_sel:DWORD dst_unused:UNUSED_PAD src0_sel:WORD_1 src1_sel:DWORD
	v_mul_f16_sdwa v56, v20, v41 dst_sel:DWORD dst_unused:UNUSED_PAD src0_sel:WORD_1 src1_sel:DWORD
	v_add_f16_e32 v49, v50, v49
	v_fmamk_f16 v50, v45, 0x3abb, v53
	v_add_f16_e32 v55, v6, v55
	v_fma_f16 v57, v10, 0xbbad, -v38
	v_mul_f16_sdwa v41, v15, v41 dst_sel:DWORD dst_unused:UNUSED_PAD src0_sel:WORD_1 src1_sel:DWORD
	v_fma_f16 v58, v18, 0x36a6, -v56
	v_add_f16_e32 v49, v50, v49
	v_mul_f16_e32 v59, 0xb93d, v24
	v_add_f16_e32 v50, v57, v55
	v_fma_f16 v55, v13, 0x36a6, -v41
	v_mul_f16_sdwa v57, v19, v35 dst_sel:DWORD dst_unused:UNUSED_PAD src0_sel:WORD_1 src1_sel:DWORD
	v_add_f16_e32 v8, v58, v8
	v_mul_f16_e32 v58, 0xbb47, v9
	v_fmamk_f16 v60, v20, 0xba0c, v59
	v_add_f16_e32 v50, v55, v50
	v_fma_f16 v55, v17, 0x3abb, -v57
	v_mul_f16_e32 v62, 0xba0c, v11
	v_fmamk_f16 v61, v23, 0x36a6, v58
	v_fma_f16 v21, v23, 0xb93d, -v21
	v_add_f16_e32 v49, v60, v49
	v_add_f16_e32 v50, v55, v50
	v_pk_mul_f16 v55, 0x3abb36a6, v7
	v_mul_f16_sdwa v60, v20, v34 dst_sel:DWORD dst_unused:UNUSED_PAD src0_sel:WORD_1 src1_sel:DWORD
	v_add_f16_sdwa v61, v6, v61 dst_sel:DWORD dst_unused:UNUSED_PAD src0_sel:WORD_1 src1_sel:DWORD
	v_fmamk_f16 v64, v42, 0xb93d, v62
	v_pk_mul_f16 v67, 0x36a6b93d, v10
	v_pk_fma_f16 v66, 0xbb47b853, v9, v55 op_sel:[0,0,1] op_sel_hi:[1,1,0]
	v_pk_fma_f16 v55, 0xbb47b853, v9, v55 op_sel:[0,0,1] op_sel_hi:[1,1,0] neg_lo:[0,1,0] neg_hi:[0,1,0]
	v_add_f16_sdwa v21, v6, v21 dst_sel:DWORD dst_unused:UNUSED_PAD src0_sel:WORD_1 src1_sel:DWORD
	v_fma_f16 v16, v42, 0xb08e, -v16
	v_fmac_f16_e32 v48, 0xb93d, v7
	v_fma_f16 v63, v18, 0xb93d, -v60
	v_mul_f16_e32 v65, 0x3482, v15
	v_add_f16_e32 v61, v64, v61
	v_bfi_b32 v64, 0xffff, v66, v55
	v_pk_fma_f16 v68, 0xba0cbb47, v11, v67 op_sel:[0,0,1] op_sel_hi:[1,1,0]
	v_pk_fma_f16 v67, 0xba0cbb47, v11, v67 op_sel:[0,0,1] op_sel_hi:[1,1,0] neg_lo:[0,1,0] neg_hi:[0,1,0]
	v_pk_mul_f16 v69, 0xb08ebbad, v13
	v_add_f16_e32 v16, v16, v21
	v_fma_f16 v21, v44, 0x3abb, -v43
	v_add_f16_e32 v48, v6, v48
	v_fmac_f16_e32 v22, 0xb08e, v10
	v_add_f16_e32 v50, v63, v50
	v_fmamk_f16 v63, v44, 0xbbad, v65
	v_pk_add_f16 v64, v6, v64 op_sel:[1,0] op_sel_hi:[0,1]
	v_bfi_b32 v70, 0xffff, v68, v67
	v_pk_fma_f16 v71, 0x3482bbeb, v15, v69 op_sel:[0,0,1] op_sel_hi:[1,1,0]
	v_pk_fma_f16 v69, 0x3482bbeb, v15, v69 op_sel:[0,0,1] op_sel_hi:[1,1,0] neg_lo:[0,1,0] neg_hi:[0,1,0]
	v_pk_mul_f16 v72, 0xb93db08e, v17
	v_mul_f16_sdwa v35, v9, v35 dst_sel:DWORD dst_unused:UNUSED_PAD src0_sel:WORD_1 src1_sel:DWORD
	v_add_f16_e32 v16, v21, v16
	v_fma_f16 v26, v45, 0xbbad, -v26
	v_add_f16_e32 v22, v22, v48
	v_fmac_f16_e32 v12, 0x3abb, v13
	v_add_f16_e32 v61, v63, v61
	v_mul_f16_e32 v63, 0x3beb, v19
	v_pk_add_f16 v64, v70, v64
	v_bfi_b32 v70, 0xffff, v71, v69
	v_pk_fma_f16 v75, 0x3bebba0c, v19, v72 op_sel:[0,0,1] op_sel_hi:[1,1,0]
	v_pk_fma_f16 v72, 0x3bebba0c, v19, v72 op_sel:[0,0,1] op_sel_hi:[1,1,0] neg_lo:[0,1,0] neg_hi:[0,1,0]
	v_fma_f16 v77, v7, 0x3abb, -v35
	v_mul_f16_sdwa v37, v11, v37 dst_sel:DWORD dst_unused:UNUSED_PAD src0_sel:WORD_1 src1_sel:DWORD
	v_add_f16_e32 v16, v26, v16
	v_fma_f16 v26, v24, 0x36a6, -v46
	v_add_f16_e32 v12, v12, v22
	v_fmac_f16_e32 v40, 0xbbad, v17
	v_fma_f16 v22, v23, 0xb08e, -v47
	v_fmac_f16_e32 v52, 0xb08e, v7
	v_fma_f16 v23, v23, 0x36a6, -v58
	v_fmamk_f16 v73, v45, 0xb08e, v63
	v_mul_f16_e32 v74, 0x3853, v20
	v_pk_add_f16 v64, v70, v64
	v_bfi_b32 v76, 0xffff, v75, v72
	v_add_f16_e32 v77, v6, v77
	v_fma_f16 v79, v10, 0x36a6, -v37
	v_mul_f16_sdwa v36, v15, v36 dst_sel:DWORD dst_unused:UNUSED_PAD src0_sel:WORD_1 src1_sel:DWORD
	v_add_f16_e32 v16, v26, v16
	v_add_f16_e32 v12, v40, v12
	v_add_f16_sdwa v22, v6, v22 dst_sel:DWORD dst_unused:UNUSED_PAD src0_sel:WORD_1 src1_sel:DWORD
	v_fma_f16 v26, v42, 0xbbad, -v51
	v_add_f16_e32 v40, v6, v52
	v_fmac_f16_e32 v38, 0xbbad, v10
	v_add_f16_sdwa v23, v6, v23 dst_sel:DWORD dst_unused:UNUSED_PAD src0_sel:WORD_1 src1_sel:DWORD
	v_fma_f16 v42, v42, 0xb93d, -v62
	v_add_f16_e32 v61, v73, v61
	v_fmamk_f16 v73, v24, 0x3abb, v74
	v_pk_mul_f16 v70, 0xbbad3abb, v18
	v_pk_add_f16 v64, v76, v64
	v_add_f16_e32 v76, v79, v77
	v_fma_f16 v77, v13, 0xb08e, -v36
	v_mul_f16_sdwa v34, v19, v34 dst_sel:DWORD dst_unused:UNUSED_PAD src0_sel:WORD_1 src1_sel:DWORD
	v_add_f16_e32 v22, v26, v22
	v_add_f16_e32 v26, v38, v40
	v_fmac_f16_e32 v41, 0x36a6, v13
	v_fma_f16 v38, v44, 0x36a6, -v54
	v_add_f16_e32 v23, v42, v23
	v_fma_f16 v40, v44, 0xbbad, -v65
	v_fmac_f16_e32 v35, 0x3abb, v7
	v_add_f16_e32 v61, v73, v61
	v_pk_fma_f16 v73, 0x3853b482, v20, v70 op_sel:[0,0,1] op_sel_hi:[1,1,0]
	v_pk_fma_f16 v78, 0x3853b482, v20, v70 op_sel:[0,0,1] op_sel_hi:[1,1,0] neg_lo:[0,1,0] neg_hi:[0,1,0]
	v_add_f16_e32 v76, v77, v76
	v_fma_f16 v21, v17, 0xb93d, -v34
	v_mul_f16_sdwa v39, v20, v39 dst_sel:DWORD dst_unused:UNUSED_PAD src0_sel:WORD_1 src1_sel:DWORD
	v_add_f16_e32 v26, v41, v26
	v_add_f16_e32 v22, v38, v22
	;; [unrolled: 1-line block ×3, first 2 shown]
	v_fma_f16 v38, v45, 0xb08e, -v63
	v_add_f16_sdwa v41, v6, v55 dst_sel:DWORD dst_unused:UNUSED_PAD src0_sel:WORD_1 src1_sel:DWORD
	v_add_f16_e32 v35, v6, v35
	v_fmac_f16_e32 v37, 0x36a6, v10
	v_bfi_b32 v73, 0xffff, v73, v78
	v_add_f16_e32 v21, v21, v76
	v_fma_f16 v48, v18, 0xbbad, -v39
	v_add_f16_e32 v23, v38, v23
	v_alignbit_b32 v38, s0, v66, 16
	v_add_f16_e32 v41, v67, v41
	v_add_f16_e32 v35, v37, v35
	v_fmac_f16_e32 v36, 0xb08e, v13
	v_pk_add_f16 v64, v73, v64
	v_add_f16_e32 v21, v48, v21
	v_fma_f16 v24, v24, 0x3abb, -v74
	v_pk_add_f16 v38, v6, v38
	v_alignbit_b32 v42, s0, v68, 16
	v_add_f16_e32 v37, v69, v41
	v_add_f16_e32 v35, v36, v35
	v_fmac_f16_e32 v34, 0xb93d, v17
	v_pk_mul_f16 v7, 0xbbad, v7 op_sel_hi:[0,1]
	v_mad_i32_i24 v73, v4, 44, 0
	v_add_f16_e32 v23, v24, v23
	v_pk_add_f16 v24, v42, v38
	v_alignbit_b32 v36, s0, v71, 16
	v_alignbit_b32 v38, s0, v6, 16
	v_add_f16_e32 v37, v72, v37
	v_add_f16_e32 v34, v34, v35
	v_pk_fma_f16 v35, 0xb482, v9, v7 op_sel:[0,0,1] op_sel_hi:[0,1,0] neg_lo:[0,1,0] neg_hi:[0,1,0]
	v_pk_mul_f16 v10, 0x3abb, v10 op_sel_hi:[0,1]
	v_pk_fma_f16 v7, 0xb482, v9, v7 op_sel:[0,0,1] op_sel_hi:[0,1,0]
	v_alignbit_b32 v9, v61, v64, 16
	v_pack_b32_f16 v21, v21, v64
	v_fmac_f16_e32 v39, 0xbbad, v18
	v_pk_add_f16 v24, v36, v24
	v_add_f16_e32 v36, v78, v37
	v_pk_add_f16 v37, v38, v35
	v_pk_fma_f16 v38, 0x3853, v11, v10 op_sel:[0,0,1] op_sel_hi:[0,1,0] neg_lo:[0,1,0] neg_hi:[0,1,0]
	v_pk_mul_f16 v13, 0xb93d, v13 op_sel_hi:[0,1]
	ds_write2_b32 v73, v21, v9 offset0:1 offset1:2
	v_alignbit_b32 v9, s0, v35, 16
	v_pk_add_f16 v7, v6, v7 op_sel:[1,0] op_sel_hi:[0,1]
	v_pk_fma_f16 v10, 0x3853, v11, v10 op_sel:[0,0,1] op_sel_hi:[0,1,0]
	v_fmac_f16_e32 v57, 0x3abb, v17
	v_add_f16_e32 v34, v39, v34
	v_pk_fma_f16 v39, 0xba0c, v15, v13 op_sel:[0,0,1] op_sel_hi:[0,1,0] neg_lo:[0,1,0] neg_hi:[0,1,0]
	v_pk_mul_f16 v17, 0x36a6, v17 op_sel_hi:[0,1]
	v_pk_add_f16 v6, v6, v9
	v_alignbit_b32 v9, s0, v38, 16
	v_pk_add_f16 v37, v38, v37
	v_pk_add_f16 v7, v10, v7
	v_pk_fma_f16 v10, 0xba0c, v15, v13 op_sel:[0,0,1] op_sel_hi:[0,1,0]
	v_pk_fma_f16 v13, 0x3b47, v19, v17 op_sel:[0,0,1] op_sel_hi:[0,1,0] neg_lo:[0,1,0] neg_hi:[0,1,0]
	v_pk_mul_f16 v15, 0xb08e, v18 op_sel_hi:[0,1]
	v_pk_add_f16 v6, v9, v6
	v_alignbit_b32 v9, s0, v39, 16
	v_mul_f16_e32 v77, 0xba0c, v20
	v_pk_mul_f16 v43, 0x3853b482, v20
	v_fmac_f16_e32 v56, 0x36a6, v18
	v_fma_f16 v40, v45, 0x3abb, -v53
	v_fmac_f16_e32 v60, 0xb93d, v18
	v_pk_add_f16 v11, v39, v37
	v_pk_add_f16 v7, v10, v7
	v_pk_fma_f16 v10, 0x3b47, v19, v17 op_sel:[0,0,1] op_sel_hi:[0,1,0]
	v_lshlrev_b32_e32 v18, 16, v24
	v_pk_fma_f16 v17, 0xbbeb, v20, v15 op_sel:[0,0,1] op_sel_hi:[0,1,0] neg_lo:[0,1,0] neg_hi:[0,1,0]
	v_pk_add_f16 v6, v9, v6
	v_alignbit_b32 v9, s0, v13, 16
	v_pk_add_f16 v11, v13, v11
	v_pk_add_f16 v7, v10, v7
	v_pk_add_f16 v10, v59, v77 neg_lo:[0,1] neg_hi:[0,1]
	v_pk_add_f16 v13, v75, v18
	v_pack_b32_f16 v18, v40, v70
	v_bfi_b32 v19, 0xffff, v22, v43
	v_pk_fma_f16 v15, 0xbbeb, v20, v15 op_sel:[0,0,1] op_sel_hi:[0,1,0]
	v_pk_add_f16 v6, v9, v6
	v_alignbit_b32 v9, s0, v17, 16
	v_add_f16_e32 v26, v57, v26
	v_bfi_b32 v10, 0xffff, v10, v13
	v_pk_add_f16 v13, v18, v19
	v_pk_add_f16 v11, v17, v11
	;; [unrolled: 1-line block ×4, first 2 shown]
	v_add_f16_e32 v12, v56, v12
	v_add_f16_e32 v26, v60, v26
	v_pk_add_f16 v9, v10, v13
	v_pack_b32_f16 v8, v8, v14
	v_pack_b32_f16 v10, v50, v49
	v_alignbit_b32 v11, v11, v7, 16
	v_pack_b32_f16 v6, v6, v7
	v_pack_b32_f16 v7, v12, v16
	v_alignbit_b32 v12, v23, v9, 16
	v_pack_b32_f16 v9, v26, v9
	v_pack_b32_f16 v13, v34, v36
	ds_write2_b32 v73, v10, v8 offset0:3 offset1:4
	ds_write2_b32 v73, v6, v11 offset0:5 offset1:6
	ds_write2_b32 v73, v5, v7 offset1:7
	ds_write2_b32 v73, v9, v12 offset0:8 offset1:9
	ds_write_b32 v73, v13 offset:40
.LBB0_15:
	s_or_b32 exec_lo, exec_lo, s1
	v_add_nc_u32_e32 v40, 0x18c, v0
	v_mov_b32_e32 v5, 0xba2f
	v_add_nc_u32_e32 v41, 0x129, v0
	v_add_nc_u32_e32 v39, 0x1ef, v0
	;; [unrolled: 1-line block ×3, first 2 shown]
	v_mov_b32_e32 v43, 3
	v_mul_u32_u24_sdwa v6, v40, v5 dst_sel:DWORD dst_unused:UNUSED_PAD src0_sel:WORD_0 src1_sel:DWORD
	s_waitcnt lgkmcnt(0)
	s_barrier
	buffer_gl0_inv
	v_and_b32_e32 v44, 0xff, v0
	v_lshrrev_b32_e32 v48, 19, v6
	v_mul_u32_u24_sdwa v6, v41, v5 dst_sel:DWORD dst_unused:UNUSED_PAD src0_sel:WORD_0 src1_sel:DWORD
	v_and_b32_e32 v45, 0xff, v4
	v_add_nc_u32_e32 v35, 0xa00, v27
	v_mov_b32_e32 v61, 0x84
	v_mul_lo_u16 v7, v48, 11
	v_lshrrev_b32_e32 v49, 19, v6
	v_mul_u32_u24_sdwa v6, v39, v5 dst_sel:DWORD dst_unused:UNUSED_PAD src0_sel:WORD_0 src1_sel:DWORD
	v_mul_u32_u24_sdwa v5, v38, v5 dst_sel:DWORD dst_unused:UNUSED_PAD src0_sel:WORD_0 src1_sel:DWORD
	v_mov_b32_e32 v42, 2
	v_sub_nc_u16 v51, v40, v7
	v_mul_lo_u16 v7, v49, 11
	v_lshrrev_b32_e32 v50, 19, v6
	v_lshrrev_b32_e32 v59, 19, v5
	v_mad_i32_i24 v34, 0xffffffd8, v0, v25
	v_lshlrev_b32_sdwa v8, v43, v51 dst_sel:DWORD dst_unused:UNUSED_PAD src0_sel:DWORD src1_sel:WORD_0
	v_sub_nc_u16 v52, v41, v7
	v_mul_lo_u16 v6, v50, 11
	v_mul_u32_u24_e32 v75, 0x84, v50
	v_add_nc_u32_e32 v37, 0x200, v34
	global_load_dwordx2 v[19:20], v8, s[8:9]
	v_lshlrev_b32_sdwa v5, v43, v52 dst_sel:DWORD dst_unused:UNUSED_PAD src0_sel:DWORD src1_sel:WORD_0
	v_sub_nc_u16 v53, v39, v6
	v_mul_lo_u16 v6, v59, 11
	v_lshl_add_u32 v26, v4, 2, 0
	v_add_nc_u32_e32 v36, 0x400, v34
	global_load_dwordx2 v[17:18], v5, s[8:9]
	v_lshlrev_b32_sdwa v5, v43, v53 dst_sel:DWORD dst_unused:UNUSED_PAD src0_sel:DWORD src1_sel:WORD_0
	v_sub_nc_u16 v54, v38, v6
	v_mul_lo_u16 v6, 0x75, v45
	v_lshlrev_b32_sdwa v53, v42, v53 dst_sel:DWORD dst_unused:UNUSED_PAD src0_sel:DWORD src1_sel:WORD_0
	v_mov_b32_e32 v46, 0xf83f
	global_load_dwordx2 v[15:16], v5, s[8:9]
	v_lshlrev_b32_sdwa v5, v43, v54 dst_sel:DWORD dst_unused:UNUSED_PAD src0_sel:DWORD src1_sel:WORD_0
	v_lshrrev_b16 v6, 8, v6
	v_add3_u32 v53, 0, v75, v53
	v_mul_lo_u16 v45, 0xf9, v45
	v_mul_u32_u24_sdwa v71, v41, v46 dst_sel:DWORD dst_unused:UNUSED_PAD src0_sel:WORD_0 src1_sel:DWORD
	global_load_dwordx2 v[13:14], v5, s[8:9]
	v_mul_lo_u16 v5, 0x75, v44
	v_sub_nc_u16 v8, v4, v6
	v_mul_u32_u24_sdwa v47, v38, v46 dst_sel:DWORD dst_unused:UNUSED_PAD src0_sel:WORD_0 src1_sel:DWORD
	v_mul_u32_u24_sdwa v72, v40, v46 dst_sel:DWORD dst_unused:UNUSED_PAD src0_sel:WORD_0 src1_sel:DWORD
	;; [unrolled: 1-line block ×3, first 2 shown]
	v_lshrrev_b16 v5, 8, v5
	v_lshrrev_b16 v8, 1, v8
	;; [unrolled: 1-line block ×3, first 2 shown]
	v_lshrrev_b32_e32 v45, 21, v71
	v_mul_u32_u24_e32 v59, 0x84, v59
	v_sub_nc_u16 v7, v0, v5
	v_and_b32_e32 v8, 0x7f, v8
	v_mul_u32_u24_e32 v71, 0x84, v49
	v_lshlrev_b32_sdwa v54, v42, v54 dst_sel:DWORD dst_unused:UNUSED_PAD src0_sel:DWORD src1_sel:WORD_0
	v_lshlrev_b32_sdwa v52, v42, v52 dst_sel:DWORD dst_unused:UNUSED_PAD src0_sel:DWORD src1_sel:WORD_0
	v_lshrrev_b16 v7, 1, v7
	v_add_nc_u16 v6, v8, v6
	v_mul_lo_u16 v73, 0xf9, v44
	v_add3_u32 v54, 0, v59, v54
	v_add3_u32 v52, 0, v71, v52
	v_and_b32_e32 v7, 0x7f, v7
	v_lshrrev_b16 v56, 3, v6
	v_lshrrev_b32_e32 v44, 21, v72
	v_mul_u32_u24_e32 v72, 0x84, v48
	v_lshlrev_b32_sdwa v51, v42, v51 dst_sel:DWORD dst_unused:UNUSED_PAD src0_sel:DWORD src1_sel:WORD_0
	v_add_nc_u16 v5, v7, v5
	v_mul_lo_u16 v6, v56, 11
	v_mul_u32_u24_sdwa v56, v56, v61 dst_sel:DWORD dst_unused:UNUSED_PAD src0_sel:WORD_0 src1_sel:DWORD
	v_lshrrev_b32_e32 v47, 21, v47
	v_add3_u32 v51, 0, v72, v51
	v_lshrrev_b16 v55, 3, v5
	v_sub_nc_u16 v58, v4, v6
	v_mul_lo_u16 v48, v46, 33
	v_mul_lo_u16 v50, v45, 33
	;; [unrolled: 1-line block ×4, first 2 shown]
	v_lshlrev_b32_sdwa v6, v43, v58 dst_sel:DWORD dst_unused:UNUSED_PAD src0_sel:DWORD src1_sel:BYTE_0
	v_mul_u32_u24_sdwa v55, v55, v61 dst_sel:DWORD dst_unused:UNUSED_PAD src0_sel:WORD_0 src1_sel:DWORD
	v_lshlrev_b32_sdwa v58, v42, v58 dst_sel:DWORD dst_unused:UNUSED_PAD src0_sel:DWORD src1_sel:BYTE_0
	v_sub_nc_u16 v48, v4, v48
	v_sub_nc_u16 v57, v0, v5
	v_sub_nc_u16 v50, v41, v50
	v_sub_nc_u16 v49, v38, v49
	v_add3_u32 v56, 0, v56, v58
	v_lshlrev_b32_sdwa v90, v43, v48 dst_sel:DWORD dst_unused:UNUSED_PAD src0_sel:DWORD src1_sel:BYTE_0
	v_lshlrev_b32_sdwa v5, v43, v57 dst_sel:DWORD dst_unused:UNUSED_PAD src0_sel:DWORD src1_sel:BYTE_0
	s_clause 0x1
	global_load_dwordx2 v[7:8], v5, s[8:9]
	global_load_dwordx2 v[5:6], v6, s[8:9]
	ds_read2_b32 v[23:24], v32 offset0:123 offset1:222
	ds_read2_b32 v[21:22], v30 offset0:77 offset1:176
	ds_read2_b32 v[11:12], v31 offset0:65 offset1:164
	ds_read2_b32 v[9:10], v29 offset0:7 offset1:106
	ds_read_b32 v60, v27 offset:6732
	ds_read_b32 v68, v27
	ds_read2_b32 v[62:63], v35 offset0:53 offset1:152
	v_lshlrev_b32_sdwa v57, v42, v57 dst_sel:DWORD dst_unused:UNUSED_PAD src0_sel:DWORD src1_sel:BYTE_0
	ds_read_b32 v69, v34 offset:2376
	ds_read_b32 v70, v26
	ds_read2_b32 v[64:65], v37 offset0:70 offset1:169
	ds_read2_b32 v[66:67], v36 offset0:140 offset1:239
	s_waitcnt vmcnt(0) lgkmcnt(0)
	s_barrier
	v_add3_u32 v55, 0, v55, v57
	buffer_gl0_inv
	v_lshlrev_b32_sdwa v91, v43, v49 dst_sel:DWORD dst_unused:UNUSED_PAD src0_sel:DWORD src1_sel:WORD_0
	v_mul_u32_u24_e32 v45, 0x18c, v45
	s_add_u32 s1, s8, 0x1bac
	s_addc_u32 s4, s9, 0
	s_mov_b32 s5, exec_lo
	v_lshrrev_b32_e32 v76, 16, v24
	v_lshrrev_b32_e32 v77, 16, v22
	;; [unrolled: 1-line block ×18, first 2 shown]
	v_mul_f16_sdwa v57, v24, v19 dst_sel:DWORD dst_unused:UNUSED_PAD src0_sel:DWORD src1_sel:WORD_1
	v_mul_f16_sdwa v58, v22, v20 dst_sel:DWORD dst_unused:UNUSED_PAD src0_sel:DWORD src1_sel:WORD_1
	;; [unrolled: 1-line block ×3, first 2 shown]
	v_fmac_f16_e32 v57, v76, v19
	v_mul_f16_sdwa v76, v77, v20 dst_sel:DWORD dst_unused:UNUSED_PAD src0_sel:DWORD src1_sel:WORD_1
	v_fmac_f16_e32 v58, v77, v20
	v_mul_f16_sdwa v77, v78, v17 dst_sel:DWORD dst_unused:UNUSED_PAD src0_sel:DWORD src1_sel:WORD_1
	v_fma_f16 v19, v24, v19, -v75
	v_mul_f16_sdwa v24, v23, v17 dst_sel:DWORD dst_unused:UNUSED_PAD src0_sel:DWORD src1_sel:WORD_1
	v_fma_f16 v20, v22, v20, -v76
	;; [unrolled: 2-line block ×3, first 2 shown]
	v_mul_f16_sdwa v75, v21, v18 dst_sel:DWORD dst_unused:UNUSED_PAD src0_sel:DWORD src1_sel:WORD_1
	v_mul_f16_sdwa v76, v11, v15 dst_sel:DWORD dst_unused:UNUSED_PAD src0_sel:DWORD src1_sel:WORD_1
	v_fmac_f16_e32 v24, v78, v17
	v_fma_f16 v21, v21, v18, -v22
	v_mul_f16_sdwa v22, v82, v16 dst_sel:DWORD dst_unused:UNUSED_PAD src0_sel:DWORD src1_sel:WORD_1
	v_mul_f16_sdwa v17, v81, v15 dst_sel:DWORD dst_unused:UNUSED_PAD src0_sel:DWORD src1_sel:WORD_1
	;; [unrolled: 1-line block ×3, first 2 shown]
	v_fmac_f16_e32 v75, v80, v18
	v_mul_f16_sdwa v18, v63, v13 dst_sel:DWORD dst_unused:UNUSED_PAD src0_sel:DWORD src1_sel:WORD_1
	v_mul_f16_sdwa v78, v10, v14 dst_sel:DWORD dst_unused:UNUSED_PAD src0_sel:DWORD src1_sel:WORD_1
	;; [unrolled: 1-line block ×3, first 2 shown]
	v_fmac_f16_e32 v76, v81, v15
	v_mul_f16_sdwa v81, v79, v14 dst_sel:DWORD dst_unused:UNUSED_PAD src0_sel:DWORD src1_sel:WORD_1
	v_fma_f16 v22, v60, v16, -v22
	v_fma_f16 v11, v11, v15, -v17
	v_fmac_f16_e32 v77, v82, v16
	v_fmac_f16_e32 v18, v87, v13
	;; [unrolled: 1-line block ×3, first 2 shown]
	v_fma_f16 v13, v63, v13, -v80
	v_fma_f16 v10, v10, v14, -v81
	v_add_f16_e32 v14, v11, v22
	v_add_f16_e32 v15, v76, v77
	;; [unrolled: 1-line block ×4, first 2 shown]
	v_sub_f16_e32 v60, v76, v77
	v_add_f16_e32 v76, v66, v19
	v_add_f16_e32 v79, v71, v57
	v_fmac_f16_e32 v67, -0.5, v14
	v_add_f16_e32 v14, v64, v13
	v_add_f16_e32 v80, v57, v58
	;; [unrolled: 1-line block ×3, first 2 shown]
	v_sub_f16_e32 v19, v19, v20
	v_sub_f16_e32 v57, v57, v58
	v_fmac_f16_e32 v59, -0.5, v15
	v_add_f16_e32 v15, v13, v10
	v_add_f16_e32 v20, v76, v20
	v_sub_f16_e32 v76, v18, v78
	v_add_f16_e32 v58, v79, v58
	v_add_f16_e32 v79, v61, v18
	;; [unrolled: 1-line block ×3, first 2 shown]
	v_sub_f16_e32 v13, v13, v10
	v_add_f16_e32 v10, v14, v10
	v_add_f16_e32 v14, v24, v75
	v_sub_f16_e32 v11, v11, v22
	v_fmac_f16_e32 v71, -0.5, v80
	v_add_f16_e32 v80, v65, v23
	v_add_f16_e32 v16, v16, v22
	;; [unrolled: 1-line block ×5, first 2 shown]
	v_fma_f16 v63, -0.5, v63, v66
	v_fmac_f16_e32 v61, -0.5, v18
	v_fmac_f16_e32 v72, -0.5, v14
	v_fma_f16 v14, -0.5, v15, v64
	v_sub_f16_e32 v23, v23, v21
	v_sub_f16_e32 v24, v24, v75
	v_add_f16_e32 v18, v80, v21
	v_fmac_f16_e32 v65, -0.5, v22
	v_add_f16_e32 v21, v77, v75
	v_add_f16_e32 v66, v79, v78
	v_fmamk_f16 v15, v60, 0x3aee, v67
	v_fmamk_f16 v22, v11, 0xbaee, v59
	v_fmac_f16_e32 v59, 0x3aee, v11
	v_fmamk_f16 v11, v57, 0x3aee, v63
	v_fmac_f16_e32 v63, 0xbaee, v57
	;; [unrolled: 2-line block ×3, first 2 shown]
	v_pack_b32_f16 v19, v20, v58
	v_pack_b32_f16 v16, v16, v17
	v_fmamk_f16 v17, v76, 0x3aee, v14
	v_fmamk_f16 v20, v13, 0xbaee, v61
	v_fmac_f16_e32 v67, 0xbaee, v60
	v_fmac_f16_e32 v61, 0x3aee, v13
	v_fmamk_f16 v13, v24, 0x3aee, v65
	v_fmac_f16_e32 v65, 0xbaee, v24
	v_fmamk_f16 v24, v23, 0xbaee, v72
	v_fmac_f16_e32 v72, 0x3aee, v23
	v_pack_b32_f16 v18, v18, v21
	v_mul_f16_sdwa v21, v8, v83 dst_sel:DWORD dst_unused:UNUSED_PAD src0_sel:WORD_1 src1_sel:DWORD
	v_mul_f16_sdwa v23, v7, v86 dst_sel:DWORD dst_unused:UNUSED_PAD src0_sel:WORD_1 src1_sel:DWORD
	;; [unrolled: 1-line block ×4, first 2 shown]
	v_pack_b32_f16 v10, v10, v66
	v_mul_f16_sdwa v64, v5, v88 dst_sel:DWORD dst_unused:UNUSED_PAD src0_sel:WORD_1 src1_sel:DWORD
	v_mul_f16_sdwa v66, v5, v62 dst_sel:DWORD dst_unused:UNUSED_PAD src0_sel:WORD_1 src1_sel:DWORD
	v_pack_b32_f16 v15, v15, v22
	v_pack_b32_f16 v17, v17, v20
	v_mul_f16_sdwa v20, v85, v6 dst_sel:DWORD dst_unused:UNUSED_PAD src0_sel:DWORD src1_sel:WORD_1
	v_mul_f16_sdwa v22, v9, v6 dst_sel:DWORD dst_unused:UNUSED_PAD src0_sel:DWORD src1_sel:WORD_1
	v_fma_f16 v12, v8, v12, -v21
	v_fma_f16 v21, v7, v69, -v23
	v_fmac_f16_e32 v58, v7, v86
	v_fmac_f16_e32 v60, v8, v83
	v_fma_f16 v7, v5, v62, -v64
	v_fmac_f16_e32 v66, v5, v88
	v_fma_f16 v5, v9, v6, -v20
	v_fmac_f16_e32 v22, v85, v6
	v_add_f16_e32 v8, v21, v12
	v_add_f16_e32 v23, v58, v60
	v_fmac_f16_e32 v14, 0xbaee, v76
	v_pack_b32_f16 v11, v11, v57
	v_pack_b32_f16 v57, v63, v71
	v_sub_f16_e32 v9, v58, v60
	v_add_f16_e32 v20, v84, v58
	v_add_f16_e32 v58, v7, v5
	;; [unrolled: 1-line block ×4, first 2 shown]
	v_sub_f16_e32 v21, v21, v12
	v_fmac_f16_e32 v68, -0.5, v8
	v_fmac_f16_e32 v84, -0.5, v23
	v_pack_b32_f16 v14, v14, v61
	v_pack_b32_f16 v13, v13, v24
	v_add_f16_e32 v24, v70, v7
	v_sub_f16_e32 v61, v66, v22
	v_add_f16_e32 v62, v89, v66
	v_sub_f16_e32 v7, v7, v5
	v_fmac_f16_e32 v70, -0.5, v58
	v_fmac_f16_e32 v89, -0.5, v63
	v_add_f16_e32 v6, v6, v12
	v_add_f16_e32 v8, v20, v60
	v_fmamk_f16 v20, v9, 0x3aee, v68
	v_fmac_f16_e32 v68, 0xbaee, v9
	v_fmamk_f16 v9, v21, 0xbaee, v84
	v_fmac_f16_e32 v84, 0x3aee, v21
	v_add_f16_e32 v5, v24, v5
	v_add_f16_e32 v12, v62, v22
	v_fmamk_f16 v21, v61, 0x3aee, v70
	v_fmamk_f16 v22, v7, 0xbaee, v89
	v_fmac_f16_e32 v70, 0xbaee, v61
	v_fmac_f16_e32 v89, 0x3aee, v7
	v_pack_b32_f16 v6, v6, v8
	v_pack_b32_f16 v7, v20, v9
	v_pack_b32_f16 v8, v68, v84
	v_pack_b32_f16 v5, v5, v12
	v_pack_b32_f16 v9, v21, v22
	v_pack_b32_f16 v12, v70, v89
	v_pack_b32_f16 v59, v67, v59
	v_pack_b32_f16 v20, v65, v72
	ds_write2_b32 v55, v6, v7 offset1:11
	ds_write_b32 v55, v8 offset:88
	ds_write2_b32 v56, v5, v9 offset1:11
	ds_write_b32 v56, v12 offset:88
	;; [unrolled: 2-line block ×6, first 2 shown]
	v_lshrrev_b16 v21, 13, v73
	v_mul_lo_u16 v5, v44, 33
	v_lshrrev_b32_e32 v20, 21, v74
	v_lshlrev_b32_sdwa v6, v43, v50 dst_sel:DWORD dst_unused:UNUSED_PAD src0_sel:DWORD src1_sel:WORD_0
	s_waitcnt lgkmcnt(0)
	s_barrier
	v_sub_nc_u16 v19, v40, v5
	v_mul_lo_u16 v5, v21, 33
	buffer_gl0_inv
	s_clause 0x2
	global_load_dwordx2 v[17:18], v90, s[8:9] offset:88
	global_load_dwordx2 v[11:12], v6, s[8:9] offset:88
	;; [unrolled: 1-line block ×3, first 2 shown]
	v_sub_nc_u16 v23, v0, v5
	v_mul_lo_u16 v5, v20, 33
	v_mov_b32_e32 v24, 0xa57f
	v_sub_nc_u16 v22, v39, v5
	v_mul_u32_u24_sdwa v53, v41, v24 dst_sel:DWORD dst_unused:UNUSED_PAD src0_sel:WORD_0 src1_sel:DWORD
	v_mul_u32_u24_sdwa v54, v40, v24 dst_sel:DWORD dst_unused:UNUSED_PAD src0_sel:WORD_0 src1_sel:DWORD
	;; [unrolled: 1-line block ×4, first 2 shown]
	v_lshlrev_b32_sdwa v5, v43, v22 dst_sel:DWORD dst_unused:UNUSED_PAD src0_sel:DWORD src1_sel:WORD_0
	v_lshrrev_b32_e32 v24, 22, v24
	global_load_dwordx2 v[7:8], v5, s[8:9] offset:88
	v_lshlrev_b32_sdwa v6, v43, v19 dst_sel:DWORD dst_unused:UNUSED_PAD src0_sel:DWORD src1_sel:WORD_0
	v_lshlrev_b32_e32 v5, 1, v0
	global_load_dwordx2 v[13:14], v6, s[8:9] offset:88
	v_lshlrev_b32_sdwa v6, v43, v23 dst_sel:DWORD dst_unused:UNUSED_PAD src0_sel:DWORD src1_sel:BYTE_0
	v_mov_b32_e32 v43, 0x18c
	v_lshlrev_b32_sdwa v23, v42, v23 dst_sel:DWORD dst_unused:UNUSED_PAD src0_sel:DWORD src1_sel:BYTE_0
	global_load_dwordx2 v[9:10], v6, s[8:9] offset:88
	v_mov_b32_e32 v6, 0
	v_lshlrev_b64 v[51:52], 2, v[5:6]
	v_lshrrev_b32_e32 v5, 22, v53
	v_lshrrev_b32_e32 v53, 22, v54
	v_lshrrev_b32_e32 v54, 22, v55
	v_mul_u32_u24_sdwa v55, v21, v43 dst_sel:DWORD dst_unused:UNUSED_PAD src0_sel:WORD_0 src1_sel:DWORD
	v_mul_u32_u24_sdwa v43, v46, v43 dst_sel:DWORD dst_unused:UNUSED_PAD src0_sel:WORD_0 src1_sel:DWORD
	v_mul_u32_u24_e32 v46, 0x18c, v47
	v_mul_lo_u16 v5, 0x63, v5
	v_mul_lo_u16 v21, 0x63, v53
	;; [unrolled: 1-line block ×3, first 2 shown]
	v_mul_u32_u24_e32 v53, 0x18c, v44
	v_mul_u32_u24_e32 v54, 0x18c, v20
	v_sub_nc_u16 v5, v41, v5
	v_sub_nc_u16 v21, v40, v21
	;; [unrolled: 1-line block ×3, first 2 shown]
	v_lshlrev_b32_sdwa v41, v42, v48 dst_sel:DWORD dst_unused:UNUSED_PAD src0_sel:DWORD src1_sel:BYTE_0
	v_lshlrev_b32_sdwa v44, v42, v49 dst_sel:DWORD dst_unused:UNUSED_PAD src0_sel:DWORD src1_sel:WORD_0
	v_lshlrev_b32_sdwa v47, v42, v50 dst_sel:DWORD dst_unused:UNUSED_PAD src0_sel:DWORD src1_sel:WORD_0
	;; [unrolled: 1-line block ×4, first 2 shown]
	v_and_b32_e32 v20, 0xffff, v5
	v_and_b32_e32 v19, 0xffff, v21
	;; [unrolled: 1-line block ×3, first 2 shown]
	v_add3_u32 v5, 0, v55, v23
	v_add3_u32 v50, 0, v43, v41
	ds_read_b32 v55, v27
	ds_read_b32 v56, v26
	ds_read2_b32 v[22:23], v37 offset0:70 offset1:169
	ds_read2_b32 v[40:41], v35 offset0:53 offset1:152
	;; [unrolled: 1-line block ×3, first 2 shown]
	v_add3_u32 v57, 0, v46, v44
	v_add3_u32 v58, 0, v45, v47
	ds_read2_b32 v[44:45], v32 offset0:123 offset1:222
	ds_read2_b32 v[46:47], v30 offset0:77 offset1:176
	v_add3_u32 v59, 0, v53, v48
	v_add3_u32 v60, 0, v54, v49
	ds_read_b32 v61, v34 offset:2376
	ds_read2_b32 v[48:49], v31 offset0:65 offset1:164
	ds_read_b32 v63, v27 offset:6732
	ds_read2_b32 v[53:54], v36 offset0:140 offset1:239
	s_waitcnt vmcnt(0) lgkmcnt(0)
	s_barrier
	buffer_gl0_inv
	v_lshlrev_b32_e32 v62, 3, v20
	v_lshlrev_b32_e32 v64, 3, v19
	v_lshl_add_u32 v19, v19, 2, 0
	v_lshrrev_b32_e32 v65, 16, v55
	v_lshrrev_b32_e32 v66, 16, v56
	;; [unrolled: 1-line block ×18, first 2 shown]
	v_mul_f16_sdwa v83, v17, v40 dst_sel:DWORD dst_unused:UNUSED_PAD src0_sel:WORD_1 src1_sel:DWORD
	v_mul_f16_sdwa v84, v18, v42 dst_sel:DWORD dst_unused:UNUSED_PAD src0_sel:WORD_1 src1_sel:DWORD
	v_mul_f16_sdwa v85, v17, v68 dst_sel:DWORD dst_unused:UNUSED_PAD src0_sel:WORD_1 src1_sel:DWORD
	v_mul_f16_sdwa v87, v70, v15 dst_sel:DWORD dst_unused:UNUSED_PAD src0_sel:DWORD src1_sel:WORD_1
	v_mul_f16_sdwa v88, v71, v16 dst_sel:DWORD dst_unused:UNUSED_PAD src0_sel:DWORD src1_sel:WORD_1
	;; [unrolled: 1-line block ×4, first 2 shown]
	v_mul_f16_sdwa v86, v18, v69 dst_sel:DWORD dst_unused:UNUSED_PAD src0_sel:WORD_1 src1_sel:DWORD
	v_fmac_f16_e32 v83, v17, v68
	v_mul_f16_sdwa v68, v44, v11 dst_sel:DWORD dst_unused:UNUSED_PAD src0_sel:DWORD src1_sel:WORD_1
	v_fmac_f16_e32 v84, v18, v69
	v_mul_f16_sdwa v69, v46, v12 dst_sel:DWORD dst_unused:UNUSED_PAD src0_sel:DWORD src1_sel:WORD_1
	v_fma_f16 v17, v17, v40, -v85
	v_mul_f16_sdwa v40, v72, v11 dst_sel:DWORD dst_unused:UNUSED_PAD src0_sel:DWORD src1_sel:WORD_1
	v_fma_f16 v41, v41, v15, -v87
	v_fma_f16 v43, v43, v16, -v88
	v_fmac_f16_e32 v89, v70, v15
	v_fmac_f16_e32 v90, v71, v16
	v_fma_f16 v18, v18, v42, -v86
	v_mul_f16_sdwa v42, v73, v12 dst_sel:DWORD dst_unused:UNUSED_PAD src0_sel:DWORD src1_sel:WORD_1
	v_fmac_f16_e32 v68, v72, v11
	v_mul_f16_sdwa v72, v77, v7 dst_sel:DWORD dst_unused:UNUSED_PAD src0_sel:DWORD src1_sel:WORD_1
	v_fmac_f16_e32 v69, v73, v12
	v_mul_f16_sdwa v73, v48, v7 dst_sel:DWORD dst_unused:UNUSED_PAD src0_sel:DWORD src1_sel:WORD_1
	v_fma_f16 v11, v44, v11, -v40
	v_mul_f16_sdwa v85, v74, v13 dst_sel:DWORD dst_unused:UNUSED_PAD src0_sel:DWORD src1_sel:WORD_1
	v_mul_f16_sdwa v87, v45, v13 dst_sel:DWORD dst_unused:UNUSED_PAD src0_sel:DWORD src1_sel:WORD_1
	;; [unrolled: 1-line block ×5, first 2 shown]
	v_fma_f16 v44, v45, v13, -v85
	v_mul_f16_sdwa v15, v9, v76 dst_sel:DWORD dst_unused:UNUSED_PAD src0_sel:WORD_1 src1_sel:DWORD
	v_mul_f16_sdwa v16, v9, v61 dst_sel:DWORD dst_unused:UNUSED_PAD src0_sel:WORD_1 src1_sel:DWORD
	;; [unrolled: 1-line block ×4, first 2 shown]
	v_fmac_f16_e32 v87, v74, v13
	v_fma_f16 v13, v9, v61, -v15
	v_fmac_f16_e32 v16, v9, v76
	v_fma_f16 v9, v10, v49, -v71
	v_fma_f16 v12, v46, v12, -v42
	v_mul_f16_sdwa v42, v63, v8 dst_sel:DWORD dst_unused:UNUSED_PAD src0_sel:DWORD src1_sel:WORD_1
	v_fmac_f16_e32 v70, v10, v78
	v_fma_f16 v45, v47, v14, -v86
	v_fmac_f16_e32 v88, v75, v14
	v_fma_f16 v10, v48, v7, -v72
	;; [unrolled: 2-line block ×3, first 2 shown]
	v_add_f16_e32 v14, v13, v9
	v_fmac_f16_e32 v42, v79, v8
	v_add_f16_e32 v8, v55, v13
	v_sub_f16_e32 v15, v16, v70
	v_add_f16_e32 v40, v65, v16
	v_add_f16_e32 v16, v16, v70
	;; [unrolled: 1-line block ×6, first 2 shown]
	v_fmac_f16_e32 v55, -0.5, v14
	v_add_f16_e32 v14, v10, v7
	v_sub_f16_e32 v13, v13, v9
	v_sub_f16_e32 v72, v89, v90
	v_add_f16_e32 v74, v67, v89
	v_add_f16_e32 v77, v11, v12
	v_sub_f16_e32 v78, v68, v69
	v_add_f16_e32 v79, v80, v68
	v_add_f16_e32 v68, v68, v69
	;; [unrolled: 1-line block ×3, first 2 shown]
	v_sub_f16_e32 v86, v87, v88
	v_add_f16_e32 v89, v81, v87
	v_add_f16_e32 v87, v87, v88
	;; [unrolled: 1-line block ×6, first 2 shown]
	v_fmac_f16_e32 v65, -0.5, v16
	v_sub_f16_e32 v16, v73, v42
	v_add_f16_e32 v73, v73, v42
	v_add_f16_e32 v46, v56, v17
	v_sub_f16_e32 v48, v83, v84
	v_add_f16_e32 v49, v66, v83
	v_sub_f16_e32 v17, v17, v18
	v_fmac_f16_e32 v56, -0.5, v47
	v_fmac_f16_e32 v66, -0.5, v61
	v_add_f16_e32 v63, v22, v41
	v_sub_f16_e32 v41, v41, v43
	v_fmac_f16_e32 v67, -0.5, v75
	v_fmac_f16_e32 v54, -0.5, v14
	v_fma_f16 v14, -0.5, v71, v22
	v_add_f16_e32 v76, v23, v11
	v_sub_f16_e32 v11, v11, v12
	v_add_f16_e32 v83, v53, v44
	v_sub_f16_e32 v44, v44, v45
	v_sub_f16_e32 v10, v10, v7
	v_fmac_f16_e32 v23, -0.5, v77
	v_fmac_f16_e32 v80, -0.5, v68
	v_fmac_f16_e32 v81, -0.5, v87
	v_add_f16_e32 v7, v9, v7
	v_add_f16_e32 v9, v70, v42
	v_fma_f16 v22, -0.5, v85, v53
	v_fmac_f16_e32 v82, -0.5, v73
	v_fmamk_f16 v42, v15, 0x3aee, v55
	v_fmac_f16_e32 v55, 0xbaee, v15
	v_fmamk_f16 v15, v13, 0xbaee, v65
	v_fmac_f16_e32 v65, 0x3aee, v13
	v_add_f16_e32 v18, v46, v18
	v_add_f16_e32 v46, v49, v84
	v_fmamk_f16 v13, v48, 0x3aee, v56
	v_fmac_f16_e32 v56, 0xbaee, v48
	v_fmamk_f16 v48, v17, 0xbaee, v66
	v_fmac_f16_e32 v66, 0x3aee, v17
	v_add_f16_e32 v43, v63, v43
	v_add_f16_e32 v47, v74, v90
	v_fmamk_f16 v17, v72, 0x3aee, v14
	v_fmamk_f16 v53, v41, 0xbaee, v67
	v_add_f16_e32 v12, v76, v12
	v_add_f16_e32 v49, v79, v69
	;; [unrolled: 1-line block ×4, first 2 shown]
	v_fmac_f16_e32 v14, 0xbaee, v72
	v_fmac_f16_e32 v67, 0x3aee, v41
	v_fmamk_f16 v41, v78, 0x3aee, v23
	v_fmac_f16_e32 v23, 0xbaee, v78
	v_fmamk_f16 v63, v11, 0xbaee, v80
	;; [unrolled: 2-line block ×6, first 2 shown]
	v_fmac_f16_e32 v82, 0x3aee, v10
	v_pack_b32_f16 v8, v8, v40
	v_pack_b32_f16 v7, v7, v9
	;; [unrolled: 1-line block ×18, first 2 shown]
	ds_write2_b32 v5, v8, v9 offset1:33
	ds_write_b32 v5, v15 offset:264
	ds_write2_b32 v50, v10, v13 offset1:33
	ds_write_b32 v50, v42 offset:264
	;; [unrolled: 2-line block ×6, first 2 shown]
	v_mul_lo_u16 v5, 0x63, v24
	v_add_co_u32 v7, s0, s8, v51
	s_waitcnt lgkmcnt(0)
	s_barrier
	v_sub_nc_u16 v5, v39, v5
	buffer_gl0_inv
	global_load_dwordx2 v[17:18], v62, s[8:9] offset:352
	v_lshlrev_b32_e32 v9, 3, v21
	v_add_co_ci_u32_e64 v8, s0, s9, v52, s0
	v_and_b32_e32 v22, 0xffff, v5
	s_clause 0x2
	global_load_dwordx2 v[15:16], v64, s[8:9] offset:352
	global_load_dwordx2 v[13:14], v9, s[8:9] offset:352
	global_load_dwordx2 v[11:12], v[7:8], off offset:352
	v_lshl_add_u32 v50, v21, 2, 0
	v_lshlrev_b32_e32 v5, 3, v22
	v_lshl_add_u32 v51, v20, 2, 0
	v_lshl_add_u32 v22, v22, 2, 0
	v_add_nc_u32_e32 v57, 0x1200, v19
	v_add_nc_u32_e32 v54, 0x800, v50
	global_load_dwordx2 v[9:10], v5, s[8:9] offset:352
	v_lshlrev_b32_e32 v5, 1, v4
	v_add_nc_u32_e32 v56, 0xc00, v51
	v_add_nc_u32_e32 v58, 0x1600, v22
	v_lshlrev_b64 v[23:24], 2, v[5:6]
	v_lshlrev_b32_e32 v5, 1, v38
	ds_read_b32 v52, v27
	ds_read_b32 v53, v26
	ds_read2_b32 v[20:21], v37 offset0:70 offset1:169
	ds_read2_b32 v[38:39], v35 offset0:53 offset1:152
	;; [unrolled: 1-line block ×5, first 2 shown]
	ds_read_b32 v55, v34 offset:2376
	ds_read2_b32 v[46:47], v31 offset0:65 offset1:164
	ds_read_b32 v59, v27 offset:6732
	ds_read2_b32 v[48:49], v36 offset0:140 offset1:239
	s_waitcnt vmcnt(0) lgkmcnt(0)
	s_barrier
	buffer_gl0_inv
	v_lshrrev_b32_e32 v60, 16, v52
	v_lshrrev_b32_e32 v61, 16, v53
	;; [unrolled: 1-line block ×18, first 2 shown]
	v_mul_f16_sdwa v78, v42, v17 dst_sel:DWORD dst_unused:UNUSED_PAD src0_sel:DWORD src1_sel:WORD_1
	v_mul_f16_sdwa v79, v44, v18 dst_sel:DWORD dst_unused:UNUSED_PAD src0_sel:DWORD src1_sel:WORD_1
	v_mul_f16_sdwa v80, v66, v17 dst_sel:DWORD dst_unused:UNUSED_PAD src0_sel:DWORD src1_sel:WORD_1
	v_mul_f16_sdwa v81, v67, v18 dst_sel:DWORD dst_unused:UNUSED_PAD src0_sel:DWORD src1_sel:WORD_1
	v_mul_f16_sdwa v82, v68, v15 dst_sel:DWORD dst_unused:UNUSED_PAD src0_sel:DWORD src1_sel:WORD_1
	v_mul_f16_sdwa v83, v69, v16 dst_sel:DWORD dst_unused:UNUSED_PAD src0_sel:DWORD src1_sel:WORD_1
	v_mul_f16_sdwa v84, v43, v15 dst_sel:DWORD dst_unused:UNUSED_PAD src0_sel:DWORD src1_sel:WORD_1
	v_mul_f16_sdwa v85, v45, v16 dst_sel:DWORD dst_unused:UNUSED_PAD src0_sel:DWORD src1_sel:WORD_1
	v_mul_f16_sdwa v86, v39, v13 dst_sel:DWORD dst_unused:UNUSED_PAD src0_sel:DWORD src1_sel:WORD_1
	v_mul_f16_sdwa v88, v63, v13 dst_sel:DWORD dst_unused:UNUSED_PAD src0_sel:DWORD src1_sel:WORD_1
	v_mul_f16_sdwa v90, v11, v72 dst_sel:DWORD dst_unused:UNUSED_PAD src0_sel:WORD_1 src1_sel:DWORD
	v_mul_f16_sdwa v91, v12, v73 dst_sel:DWORD dst_unused:UNUSED_PAD src0_sel:WORD_1 src1_sel:DWORD
	v_fmac_f16_e32 v78, v66, v17
	v_mul_f16_sdwa v66, v11, v70 dst_sel:DWORD dst_unused:UNUSED_PAD src0_sel:WORD_1 src1_sel:DWORD
	v_fmac_f16_e32 v79, v67, v18
	v_mul_f16_sdwa v67, v11, v38 dst_sel:DWORD dst_unused:UNUSED_PAD src0_sel:WORD_1 src1_sel:DWORD
	v_fma_f16 v17, v42, v17, -v80
	v_fma_f16 v18, v44, v18, -v81
	v_mul_f16_sdwa v42, v11, v55 dst_sel:DWORD dst_unused:UNUSED_PAD src0_sel:WORD_1 src1_sel:DWORD
	v_mul_f16_sdwa v80, v12, v47 dst_sel:DWORD dst_unused:UNUSED_PAD src0_sel:WORD_1 src1_sel:DWORD
	;; [unrolled: 1-line block ×4, first 2 shown]
	v_mul_f16_sdwa v87, v41, v14 dst_sel:DWORD dst_unused:UNUSED_PAD src0_sel:DWORD src1_sel:WORD_1
	v_mul_f16_sdwa v89, v64, v14 dst_sel:DWORD dst_unused:UNUSED_PAD src0_sel:DWORD src1_sel:WORD_1
	v_fma_f16 v43, v43, v15, -v82
	v_fma_f16 v45, v45, v16, -v83
	v_mul_f16_sdwa v82, v74, v9 dst_sel:DWORD dst_unused:UNUSED_PAD src0_sel:DWORD src1_sel:WORD_1
	v_mul_f16_sdwa v83, v46, v9 dst_sel:DWORD dst_unused:UNUSED_PAD src0_sel:DWORD src1_sel:WORD_1
	v_fmac_f16_e32 v84, v68, v15
	v_mul_f16_sdwa v15, v75, v10 dst_sel:DWORD dst_unused:UNUSED_PAD src0_sel:DWORD src1_sel:WORD_1
	v_fmac_f16_e32 v85, v69, v16
	;; [unrolled: 2-line block ×3, first 2 shown]
	v_fma_f16 v13, v39, v13, -v88
	v_fma_f16 v38, v11, v38, -v90
	;; [unrolled: 1-line block ×4, first 2 shown]
	v_fmac_f16_e32 v42, v11, v70
	v_fmac_f16_e32 v80, v12, v71
	v_fmac_f16_e32 v67, v11, v72
	v_fma_f16 v11, v12, v47, -v81
	v_fmac_f16_e32 v44, v12, v73
	v_fmac_f16_e32 v87, v64, v14
	v_fma_f16 v14, v41, v14, -v89
	v_fma_f16 v12, v46, v9, -v82
	v_fmac_f16_e32 v83, v74, v9
	v_fma_f16 v9, v59, v10, -v15
	v_fmac_f16_e32 v16, v75, v10
	v_add_f16_e32 v15, v40, v11
	v_sub_f16_e32 v41, v42, v80
	v_add_f16_e32 v46, v60, v42
	v_add_f16_e32 v42, v42, v80
	;; [unrolled: 1-line block ×4, first 2 shown]
	v_sub_f16_e32 v59, v67, v44
	v_add_f16_e32 v63, v61, v67
	v_add_f16_e32 v67, v13, v14
	;; [unrolled: 1-line block ×6, first 2 shown]
	v_sub_f16_e32 v40, v40, v11
	v_add_f16_e32 v47, v53, v38
	v_sub_f16_e32 v68, v86, v87
	v_add_f16_e32 v69, v62, v86
	v_add_f16_e32 v81, v43, v45
	v_sub_f16_e32 v82, v84, v85
	v_add_f16_e32 v86, v76, v84
	v_add_f16_e32 v84, v84, v85
	;; [unrolled: 1-line block ×5, first 2 shown]
	v_sub_f16_e32 v91, v83, v16
	v_add_f16_e32 v83, v83, v16
	v_fmac_f16_e32 v52, -0.5, v15
	v_fmac_f16_e32 v60, -0.5, v42
	v_add_f16_e32 v66, v20, v13
	v_add_f16_e32 v71, v21, v17
	;; [unrolled: 1-line block ×3, first 2 shown]
	v_sub_f16_e32 v38, v38, v39
	v_fmac_f16_e32 v53, -0.5, v55
	v_fmac_f16_e32 v61, -0.5, v64
	v_sub_f16_e32 v13, v13, v14
	v_fmac_f16_e32 v62, -0.5, v70
	v_fma_f16 v20, -0.5, v67, v20
	v_sub_f16_e32 v73, v78, v79
	v_sub_f16_e32 v17, v17, v18
	v_fmac_f16_e32 v21, -0.5, v72
	v_fmac_f16_e32 v65, -0.5, v75
	v_add_f16_e32 v78, v48, v43
	v_sub_f16_e32 v43, v43, v45
	v_sub_f16_e32 v12, v12, v9
	v_add_f16_e32 v10, v10, v11
	v_add_f16_e32 v11, v46, v80
	;; [unrolled: 1-line block ×3, first 2 shown]
	v_fmac_f16_e32 v76, -0.5, v84
	v_add_f16_e32 v9, v88, v9
	v_fmac_f16_e32 v49, -0.5, v89
	v_add_f16_e32 v16, v90, v16
	v_fma_f16 v47, -0.5, v81, v48
	v_fmac_f16_e32 v77, -0.5, v83
	v_fmamk_f16 v48, v41, 0x3aee, v52
	v_fmac_f16_e32 v52, 0xbaee, v41
	v_fmamk_f16 v41, v40, 0xbaee, v60
	v_add_f16_e32 v39, v63, v44
	v_add_f16_e32 v14, v66, v14
	;; [unrolled: 1-line block ×5, first 2 shown]
	v_fmac_f16_e32 v60, 0x3aee, v40
	v_fmamk_f16 v40, v59, 0x3aee, v53
	v_fmac_f16_e32 v53, 0xbaee, v59
	v_fmamk_f16 v55, v38, 0xbaee, v61
	;; [unrolled: 2-line block ×3, first 2 shown]
	v_fmamk_f16 v59, v13, 0xbaee, v62
	v_fmac_f16_e32 v20, 0xbaee, v68
	v_fmac_f16_e32 v62, 0x3aee, v13
	v_fmamk_f16 v13, v73, 0x3aee, v21
	v_fmamk_f16 v63, v17, 0xbaee, v65
	v_add_f16_e32 v45, v78, v45
	v_add_f16_e32 v46, v86, v85
	v_fmac_f16_e32 v21, 0xbaee, v73
	v_fmac_f16_e32 v65, 0x3aee, v17
	v_fmamk_f16 v17, v82, 0x3aee, v47
	v_fmac_f16_e32 v47, 0xbaee, v82
	v_fmamk_f16 v64, v43, 0xbaee, v76
	;; [unrolled: 2-line block ×4, first 2 shown]
	v_fmac_f16_e32 v77, 0x3aee, v12
	v_pack_b32_f16 v10, v10, v11
	v_pack_b32_f16 v9, v9, v16
	;; [unrolled: 1-line block ×18, first 2 shown]
	ds_write2_b32 v27, v10, v16 offset1:99
	ds_write2_b32 v1, v18, v11 offset0:70 offset1:169
	ds_write2_b32 v33, v39, v40 offset0:140 offset1:239
	;; [unrolled: 1-line block ×3, first 2 shown]
	ds_write_b32 v50, v20 offset:3168
	ds_write2_b32 v56, v14, v13 offset0:123 offset1:222
	ds_write_b32 v51, v21 offset:4356
	ds_write2_b32 v57, v15, v17 offset0:36 offset1:135
	;; [unrolled: 2-line block ×3, first 2 shown]
	ds_write_b32 v22, v43 offset:6732
	s_waitcnt lgkmcnt(0)
	s_barrier
	buffer_gl0_inv
	global_load_dwordx2 v[12:13], v[7:8], off offset:1144
	v_add_co_u32 v7, s0, s8, v23
	v_lshlrev_b64 v[14:15], 2, v[5:6]
	v_add_co_ci_u32_e64 v8, s0, s9, v24, s0
	v_mov_b32_e32 v1, v6
	v_mov_b32_e32 v5, v6
	global_load_dwordx2 v[10:11], v[7:8], off offset:1144
	v_add_co_u32 v7, s0, s8, v14
	v_add_co_ci_u32_e64 v8, s0, s9, v15, s0
	v_lshlrev_b64 v[4:5], 2, v[4:5]
	global_load_dwordx2 v[8:9], v[7:8], off offset:1144
	v_lshlrev_b64 v[6:7], 2, v[0:1]
	ds_read_b32 v50, v27
	ds_read2_b32 v[18:19], v37 offset0:70 offset1:169
	ds_read2_b32 v[20:21], v35 offset0:53 offset1:152
	ds_read_b32 v51, v26
	ds_read2_b32 v[22:23], v29 offset0:7 offset1:106
	ds_read_b32 v52, v34 offset:2376
	ds_read2_b32 v[38:39], v32 offset0:123 offset1:222
	ds_read2_b32 v[40:41], v30 offset0:77 offset1:176
	;; [unrolled: 1-line block ×4, first 2 shown]
	v_add_co_u32 v1, s0, s8, v6
	v_add_co_ci_u32_e64 v24, s0, s9, v7, s0
	v_add_co_u32 v33, s0, s8, v4
	v_add_co_ci_u32_e64 v49, s0, s9, v5, s0
	v_add_co_u32 v14, s0, 0x1000, v1
	v_add_co_ci_u32_e64 v15, s0, 0, v24, s0
	v_add_co_u32 v16, s0, 0x1800, v1
	v_add_co_ci_u32_e64 v17, s0, 0, v24, s0
	v_add_co_u32 v44, s0, 0x800, v1
	ds_read_b32 v1, v27 offset:6732
	s_waitcnt lgkmcnt(5)
	v_lshrrev_b32_e32 v60, 16, v52
	s_waitcnt lgkmcnt(1)
	v_lshrrev_b32_e32 v63, 16, v47
	v_lshrrev_b32_e32 v57, 16, v38
	;; [unrolled: 1-line block ×10, first 2 shown]
	v_add_co_ci_u32_e64 v45, s0, 0, v24, s0
	v_lshrrev_b32_e32 v24, 16, v50
	v_add_co_u32 v48, s0, 0x800, v33
	v_lshrrev_b32_e32 v33, 16, v51
	v_lshrrev_b32_e32 v56, 16, v19
	;; [unrolled: 1-line block ×3, first 2 shown]
	s_waitcnt lgkmcnt(0)
	v_lshrrev_b32_e32 v67, 16, v1
	v_lshrrev_b32_e32 v59, 16, v42
	;; [unrolled: 1-line block ×3, first 2 shown]
	s_waitcnt vmcnt(0)
	s_barrier
	buffer_gl0_inv
	v_add_co_ci_u32_e64 v49, s0, 0, v49, s0
	v_mul_f16_sdwa v69, v12, v60 dst_sel:DWORD dst_unused:UNUSED_PAD src0_sel:WORD_1 src1_sel:DWORD
	v_mul_f16_sdwa v70, v12, v52 dst_sel:DWORD dst_unused:UNUSED_PAD src0_sel:WORD_1 src1_sel:DWORD
	;; [unrolled: 1-line block ×4, first 2 shown]
	v_mul_f16_sdwa v73, v38, v12 dst_sel:DWORD dst_unused:UNUSED_PAD src0_sel:DWORD src1_sel:WORD_1
	v_mul_f16_sdwa v75, v57, v12 dst_sel:DWORD dst_unused:UNUSED_PAD src0_sel:DWORD src1_sel:WORD_1
	;; [unrolled: 1-line block ×4, first 2 shown]
	v_fma_f16 v52, v12, v52, -v69
	v_mul_f16_sdwa v77, v61, v10 dst_sel:DWORD dst_unused:UNUSED_PAD src0_sel:DWORD src1_sel:WORD_1
	v_mul_f16_sdwa v78, v62, v11 dst_sel:DWORD dst_unused:UNUSED_PAD src0_sel:DWORD src1_sel:WORD_1
	v_mul_f16_sdwa v79, v10, v20 dst_sel:DWORD dst_unused:UNUSED_PAD src0_sel:WORD_1 src1_sel:DWORD
	v_mul_f16_sdwa v80, v39, v10 dst_sel:DWORD dst_unused:UNUSED_PAD src0_sel:DWORD src1_sel:WORD_1
	v_mul_f16_sdwa v81, v11, v22 dst_sel:DWORD dst_unused:UNUSED_PAD src0_sel:WORD_1 src1_sel:DWORD
	;; [unrolled: 2-line block ×3, first 2 shown]
	v_mul_f16_sdwa v84, v11, v65 dst_sel:DWORD dst_unused:UNUSED_PAD src0_sel:WORD_1 src1_sel:DWORD
	v_mul_f16_sdwa v85, v54, v8 dst_sel:DWORD dst_unused:UNUSED_PAD src0_sel:DWORD src1_sel:WORD_1
	v_mul_f16_sdwa v86, v55, v9 dst_sel:DWORD dst_unused:UNUSED_PAD src0_sel:DWORD src1_sel:WORD_1
	;; [unrolled: 1-line block ×8, first 2 shown]
	v_fmac_f16_e32 v70, v12, v60
	v_fmac_f16_e32 v72, v13, v63
	v_fma_f16 v47, v13, v47, -v71
	v_fmac_f16_e32 v73, v57, v12
	v_fma_f16 v12, v38, v12, -v75
	v_fma_f16 v38, v39, v10, -v77
	;; [unrolled: 1-line block ×3, first 2 shown]
	v_fmac_f16_e32 v79, v10, v64
	v_fmac_f16_e32 v81, v11, v65
	;; [unrolled: 1-line block ×4, first 2 shown]
	v_fma_f16 v10, v10, v20, -v83
	v_fma_f16 v11, v11, v22, -v84
	v_fmac_f16_e32 v74, v58, v13
	v_fma_f16 v20, v21, v8, -v85
	v_fma_f16 v21, v23, v9, -v86
	;; [unrolled: 1-line block ×3, first 2 shown]
	v_fmac_f16_e32 v90, v66, v8
	v_fma_f16 v1, v1, v9, -v91
	v_fmac_f16_e32 v92, v67, v9
	v_fma_f16 v13, v40, v13, -v76
	v_fmac_f16_e32 v87, v54, v8
	v_fmac_f16_e32 v88, v55, v9
	v_add_f16_e32 v8, v50, v52
	v_add_f16_e32 v9, v52, v47
	v_add_f16_e32 v40, v24, v70
	v_add_f16_e32 v41, v70, v72
	v_add_f16_e32 v54, v10, v11
	v_add_f16_e32 v58, v79, v81
	v_sub_f16_e32 v23, v70, v72
	v_sub_f16_e32 v55, v79, v81
	v_add_f16_e32 v57, v33, v79
	v_add_f16_e32 v61, v20, v21
	v_sub_f16_e32 v67, v73, v74
	v_add_f16_e32 v69, v56, v73
	v_add_f16_e32 v70, v73, v74
	;; [unrolled: 1-line block ×6, first 2 shown]
	v_sub_f16_e32 v46, v52, v47
	v_add_f16_e32 v64, v87, v88
	v_add_f16_e32 v66, v12, v13
	;; [unrolled: 1-line block ×3, first 2 shown]
	v_fmac_f16_e32 v50, -0.5, v9
	v_add_f16_e32 v9, v40, v72
	v_fmac_f16_e32 v24, -0.5, v41
	v_add_f16_e32 v52, v51, v10
	v_sub_f16_e32 v10, v10, v11
	v_fmac_f16_e32 v51, -0.5, v54
	v_fmac_f16_e32 v33, -0.5, v58
	v_add_f16_e32 v60, v18, v20
	v_sub_f16_e32 v62, v87, v88
	v_add_f16_e32 v63, v53, v87
	v_add_f16_e32 v65, v19, v12
	v_sub_f16_e32 v12, v12, v13
	v_add_f16_e32 v71, v42, v38
	v_sub_f16_e32 v75, v80, v82
	;; [unrolled: 2-line block ×5, first 2 shown]
	v_fmac_f16_e32 v56, -0.5, v70
	v_fma_f16 v18, -0.5, v61, v18
	v_fma_f16 v42, -0.5, v73, v42
	v_fmac_f16_e32 v59, -0.5, v77
	v_fmac_f16_e32 v43, -0.5, v79
	;; [unrolled: 1-line block ×3, first 2 shown]
	v_sub_f16_e32 v20, v20, v21
	v_add_f16_e32 v40, v57, v81
	v_fmac_f16_e32 v53, -0.5, v64
	v_fmac_f16_e32 v19, -0.5, v66
	v_fmamk_f16 v57, v23, 0x3aee, v50
	v_fmac_f16_e32 v50, 0xbaee, v23
	v_fmamk_f16 v23, v46, 0xbaee, v24
	v_pack_b32_f16 v8, v8, v9
	v_fmac_f16_e32 v24, 0x3aee, v46
	v_add_f16_e32 v11, v52, v11
	v_fmamk_f16 v46, v55, 0x3aee, v51
	v_fmac_f16_e32 v51, 0xbaee, v55
	v_fmamk_f16 v55, v10, 0xbaee, v33
	v_add_f16_e32 v21, v60, v21
	v_add_f16_e32 v41, v63, v88
	;; [unrolled: 1-line block ×6, first 2 shown]
	v_fmac_f16_e32 v33, 0x3aee, v10
	v_fmamk_f16 v10, v62, 0x3aee, v18
	v_fmac_f16_e32 v18, 0xbaee, v62
	v_fmamk_f16 v60, v12, 0xbaee, v56
	;; [unrolled: 2-line block ×6, first 2 shown]
	v_fmac_f16_e32 v68, 0x3aee, v22
	v_add_f16_e32 v13, v65, v13
	v_add_f16_e32 v47, v69, v74
	v_fmamk_f16 v58, v20, 0xbaee, v53
	v_fmac_f16_e32 v53, 0x3aee, v20
	v_fmamk_f16 v20, v67, 0x3aee, v19
	v_fmac_f16_e32 v19, 0xbaee, v67
	ds_write_b32 v27, v8
	v_pack_b32_f16 v8, v57, v23
	v_pack_b32_f16 v22, v50, v24
	;; [unrolled: 1-line block ×17, first 2 shown]
	ds_write_b32 v27, v8 offset:1188
	ds_write_b32 v27, v22 offset:2376
	ds_write_b32 v26, v9
	ds_write_b32 v26, v23 offset:1188
	ds_write_b32 v26, v24 offset:2376
	;; [unrolled: 1-line block ×14, first 2 shown]
	s_waitcnt lgkmcnt(0)
	s_barrier
	buffer_gl0_inv
	s_clause 0x8
	global_load_dword v1, v[44:45], off offset:1472
	global_load_dword v22, v[14:15], off offset:216
	;; [unrolled: 1-line block ×9, first 2 shown]
	ds_read2_b32 v[8:9], v32 offset0:123 offset1:222
	ds_read2_b32 v[10:11], v31 offset0:65 offset1:164
	;; [unrolled: 1-line block ×4, first 2 shown]
	ds_read_b32 v29, v27 offset:6732
	ds_read_b32 v32, v27
	ds_read2_b32 v[16:17], v37 offset0:70 offset1:169
	ds_read2_b32 v[18:19], v36 offset0:140 offset1:239
	ds_read_b32 v42, v26
	ds_read_b32 v43, v34 offset:2376
	ds_read2_b32 v[20:21], v35 offset0:53 offset1:152
	v_add_nc_u32_e32 v30, 0x1000, v34
	v_add_nc_u32_e32 v31, 0x1400, v34
	s_waitcnt vmcnt(0) lgkmcnt(0)
	s_barrier
	buffer_gl0_inv
	v_pk_mul_f16 v44, v1, v8 op_sel:[0,1]
	v_pk_mul_f16 v45, v22, v10 op_sel:[0,1]
	v_pk_mul_f16 v46, v23, v11 op_sel:[0,1]
	v_pk_mul_f16 v47, v12, v24 op_sel:[0,1]
	v_pk_mul_f16 v48, v13, v33 op_sel:[0,1]
	v_pk_mul_f16 v49, v14, v38 op_sel:[0,1]
	v_pk_mul_f16 v50, v15, v39 op_sel:[0,1]
	v_pk_mul_f16 v51, v29, v40 op_sel:[0,1]
	v_pk_mul_f16 v52, v41, v9 op_sel:[0,1]
	v_pk_fma_f16 v53, v1, v8, v44 op_sel:[0,0,1] op_sel_hi:[1,1,0] neg_lo:[0,0,1] neg_hi:[0,0,1]
	v_pk_fma_f16 v1, v1, v8, v44 op_sel:[0,0,1] op_sel_hi:[1,0,0]
	v_pk_fma_f16 v8, v22, v10, v45 op_sel:[0,0,1] op_sel_hi:[1,1,0] neg_lo:[0,0,1] neg_hi:[0,0,1]
	v_pk_fma_f16 v10, v22, v10, v45 op_sel:[0,0,1] op_sel_hi:[1,0,0]
	;; [unrolled: 2-line block ×9, first 2 shown]
	v_bfi_b32 v1, 0xffff, v53, v1
	v_bfi_b32 v8, 0xffff, v8, v10
	;; [unrolled: 1-line block ×9, first 2 shown]
	v_pk_add_f16 v1, v32, v1 neg_lo:[0,1] neg_hi:[0,1]
	v_pk_add_f16 v9, v42, v9 neg_lo:[0,1] neg_hi:[0,1]
	;; [unrolled: 1-line block ×9, first 2 shown]
	v_pk_fma_f16 v22, v32, 2.0, v1 op_sel_hi:[1,0,1] neg_lo:[0,0,1] neg_hi:[0,0,1]
	v_pk_fma_f16 v24, v42, 2.0, v9 op_sel_hi:[1,0,1] neg_lo:[0,0,1] neg_hi:[0,0,1]
	;; [unrolled: 1-line block ×9, first 2 shown]
	ds_write_b32 v27, v1 offset:3564
	ds_write_b32 v27, v22
	ds_write_b32 v26, v24
	ds_write_b32 v26, v9 offset:3564
	ds_write2_b32 v37, v16, v17 offset0:70 offset1:169
	ds_write2_b32 v30, v8, v10 offset0:65 offset1:164
	;; [unrolled: 1-line block ×4, first 2 shown]
	ds_write_b32 v34, v23 offset:2376
	ds_write_b32 v34, v13 offset:5940
	ds_write2_b32 v35, v20, v21 offset0:53 offset1:152
	ds_write2_b32 v28, v14, v15 offset0:48 offset1:147
	s_waitcnt lgkmcnt(0)
	s_barrier
	buffer_gl0_inv
	ds_read_b32 v12, v27
	v_lshlrev_b32_e32 v1, 2, v0
                                        ; implicit-def: $vgpr11
                                        ; implicit-def: $vgpr9
                                        ; implicit-def: $vgpr10
	v_sub_nc_u32_e32 v1, 0, v1
	v_cmpx_ne_u32_e32 0, v0
	s_xor_b32 s5, exec_lo, s5
	s_cbranch_execz .LBB0_17
; %bb.16:
	v_add_co_u32 v8, s0, s1, v6
	v_add_co_ci_u32_e64 v9, s0, s4, v7, s0
	global_load_dword v8, v[8:9], off
	ds_read_b32 v9, v1 offset:7128
	s_waitcnt lgkmcnt(0)
	v_pk_add_f16 v10, v12, v9 neg_lo:[0,1] neg_hi:[0,1]
	v_pk_add_f16 v9, v9, v12
	v_bfi_b32 v11, 0xffff, v10, v9
	v_bfi_b32 v9, 0xffff, v9, v10
	v_pk_mul_f16 v11, v11, 0.5 op_sel_hi:[1,0]
	v_pk_mul_f16 v12, v9, 0.5 op_sel_hi:[1,0]
	s_waitcnt vmcnt(0)
	v_pk_mul_f16 v10, v8, v11 op_sel:[1,0]
	v_pk_mul_f16 v8, v8, v11 op_sel_hi:[0,1]
	v_pk_fma_f16 v9, v9, 0.5, v10 op_sel_hi:[1,0,1]
	v_sub_f16_e32 v11, v12, v10
	v_sub_f16_sdwa v10, v10, v12 dst_sel:DWORD dst_unused:UNUSED_PAD src0_sel:WORD_1 src1_sel:WORD_1
                                        ; implicit-def: $vgpr12
	v_pk_add_f16 v13, v9, v8 op_sel:[0,1] op_sel_hi:[1,0]
	v_pk_add_f16 v14, v9, v8 op_sel:[0,1] op_sel_hi:[1,0] neg_lo:[0,1] neg_hi:[0,1]
	v_sub_f16_sdwa v9, v11, v8 dst_sel:DWORD dst_unused:UNUSED_PAD src0_sel:DWORD src1_sel:WORD_1
	v_sub_f16_e32 v10, v10, v8
	v_bfi_b32 v11, 0xffff, v13, v14
.LBB0_17:
	s_or_saveexec_b32 s0, s5
	v_mul_i32_i24_e32 v8, 0xffffffd8, v0
	s_xor_b32 exec_lo, exec_lo, s0
	s_cbranch_execz .LBB0_19
; %bb.18:
	v_mov_b32_e32 v10, 0
	s_waitcnt lgkmcnt(0)
	v_alignbit_b32 v9, s0, v12, 16
	ds_read_u16 v11, v10 offset:3566
	v_pk_add_f16 v13, v9, v12
	v_sub_f16_sdwa v9, v12, v12 dst_sel:DWORD dst_unused:UNUSED_PAD src0_sel:DWORD src1_sel:WORD_1
	s_waitcnt lgkmcnt(0)
	v_xor_b32_e32 v12, 0x8000, v11
	v_pack_b32_f16 v11, v13, 0
	ds_write_b16 v10, v12 offset:3566
.LBB0_19:
	s_or_b32 exec_lo, exec_lo, s0
	v_add_co_u32 v4, s0, s1, v4
	v_add_co_ci_u32_e64 v5, s0, s4, v5, s0
	v_add_nc_u32_e32 v8, v25, v8
	s_waitcnt lgkmcnt(0)
	global_load_dword v12, v[4:5], off
	v_add_co_u32 v4, s0, s1, v6
	v_add_co_ci_u32_e64 v5, s0, s4, v7, s0
	s_clause 0x3
	global_load_dword v13, v[4:5], off offset:792
	global_load_dword v14, v[4:5], off offset:1188
	global_load_dword v15, v[4:5], off offset:1584
	global_load_dword v16, v[4:5], off offset:1980
	v_add_co_u32 v4, s0, 0x800, v4
	v_add_co_ci_u32_e64 v5, s0, 0, v5, s0
	ds_write_b16 v1, v10 offset:7130
	ds_write_b32 v27, v11
	ds_write_b16 v1, v9 offset:7128
	ds_read_b32 v9, v26
	ds_read_b32 v10, v1 offset:6732
	global_load_dword v11, v[4:5], off offset:328
	s_waitcnt lgkmcnt(0)
	v_pk_add_f16 v17, v9, v10 neg_lo:[0,1] neg_hi:[0,1]
	v_pk_add_f16 v9, v9, v10
	v_bfi_b32 v10, 0xffff, v17, v9
	v_bfi_b32 v9, 0xffff, v9, v17
	s_clause 0x1
	global_load_dword v17, v[4:5], off offset:724
	global_load_dword v4, v[4:5], off offset:1120
	v_pk_mul_f16 v10, v10, 0.5 op_sel_hi:[1,0]
	v_pk_mul_f16 v9, v9, 0.5 op_sel_hi:[1,0]
	s_waitcnt vmcnt(7)
	v_pk_fma_f16 v5, v12, v10, v9 op_sel:[1,0,0]
	v_pk_mul_f16 v18, v12, v10 op_sel_hi:[0,1]
	v_pk_fma_f16 v19, v12, v10, v9 op_sel:[1,0,0] neg_lo:[1,0,0] neg_hi:[1,0,0]
	v_pk_fma_f16 v9, v12, v10, v9 op_sel:[1,0,0] neg_lo:[0,0,1] neg_hi:[0,0,1]
	v_pk_add_f16 v10, v5, v18 op_sel:[0,1] op_sel_hi:[1,0]
	v_pk_add_f16 v5, v5, v18 op_sel:[0,1] op_sel_hi:[1,0] neg_lo:[0,1] neg_hi:[0,1]
	v_pk_add_f16 v12, v19, v18 op_sel:[0,1] op_sel_hi:[1,0] neg_lo:[0,1] neg_hi:[0,1]
	;; [unrolled: 1-line block ×3, first 2 shown]
	v_bfi_b32 v5, 0xffff, v10, v5
	v_bfi_b32 v9, 0xffff, v12, v9
	ds_write_b32 v26, v5
	ds_write_b32 v1, v9 offset:6732
	ds_read_b32 v5, v8 offset:792
	ds_read_b32 v9, v1 offset:6336
	s_waitcnt lgkmcnt(0)
	v_pk_add_f16 v10, v5, v9 neg_lo:[0,1] neg_hi:[0,1]
	v_pk_add_f16 v5, v5, v9
	v_bfi_b32 v9, 0xffff, v10, v5
	v_bfi_b32 v5, 0xffff, v5, v10
	v_pk_mul_f16 v9, v9, 0.5 op_sel_hi:[1,0]
	v_pk_mul_f16 v12, v5, 0.5 op_sel_hi:[1,0]
	s_waitcnt vmcnt(6)
	v_pk_mul_f16 v10, v13, v9 op_sel:[1,0]
	v_pk_mul_f16 v9, v13, v9 op_sel_hi:[0,1]
	v_pk_fma_f16 v5, v5, 0.5, v10 op_sel_hi:[1,0,1]
	v_sub_f16_sdwa v13, v10, v12 dst_sel:DWORD dst_unused:UNUSED_PAD src0_sel:WORD_1 src1_sel:WORD_1
	v_sub_f16_e32 v10, v12, v10
	v_pk_add_f16 v18, v5, v9 op_sel:[0,1] op_sel_hi:[1,0]
	v_pk_add_f16 v5, v5, v9 op_sel:[0,1] op_sel_hi:[1,0] neg_lo:[0,1] neg_hi:[0,1]
	v_sub_f16_e32 v12, v13, v9
	v_sub_f16_sdwa v9, v10, v9 dst_sel:DWORD dst_unused:UNUSED_PAD src0_sel:DWORD src1_sel:WORD_1
	v_bfi_b32 v5, 0xffff, v18, v5
	ds_write_b16 v1, v12 offset:6338
	ds_write_b32 v8, v5 offset:792
	ds_write_b16 v1, v9 offset:6336
	ds_read_b32 v5, v8 offset:1188
	ds_read_b32 v9, v1 offset:5940
	s_waitcnt lgkmcnt(0)
	v_pk_add_f16 v10, v5, v9 neg_lo:[0,1] neg_hi:[0,1]
	v_pk_add_f16 v5, v5, v9
	v_bfi_b32 v9, 0xffff, v10, v5
	v_bfi_b32 v5, 0xffff, v5, v10
	v_pk_mul_f16 v9, v9, 0.5 op_sel_hi:[1,0]
	v_pk_mul_f16 v12, v5, 0.5 op_sel_hi:[1,0]
	s_waitcnt vmcnt(5)
	v_pk_mul_f16 v10, v14, v9 op_sel:[1,0]
	v_pk_mul_f16 v9, v14, v9 op_sel_hi:[0,1]
	v_pk_fma_f16 v5, v5, 0.5, v10 op_sel_hi:[1,0,1]
	v_sub_f16_sdwa v13, v10, v12 dst_sel:DWORD dst_unused:UNUSED_PAD src0_sel:WORD_1 src1_sel:WORD_1
	v_sub_f16_e32 v10, v12, v10
	v_pk_add_f16 v14, v5, v9 op_sel:[0,1] op_sel_hi:[1,0]
	v_pk_add_f16 v5, v5, v9 op_sel:[0,1] op_sel_hi:[1,0] neg_lo:[0,1] neg_hi:[0,1]
	v_sub_f16_e32 v12, v13, v9
	v_sub_f16_sdwa v9, v10, v9 dst_sel:DWORD dst_unused:UNUSED_PAD src0_sel:DWORD src1_sel:WORD_1
	v_bfi_b32 v5, 0xffff, v14, v5
	ds_write_b16 v1, v12 offset:5942
	ds_write_b32 v8, v5 offset:1188
	ds_write_b16 v1, v9 offset:5940
	;; [unrolled: 23-line block ×5, first 2 shown]
	ds_read_b32 v5, v27 offset:2772
	ds_read_b32 v8, v1 offset:4356
	s_waitcnt lgkmcnt(0)
	v_pk_add_f16 v9, v5, v8 neg_lo:[0,1] neg_hi:[0,1]
	v_pk_add_f16 v5, v5, v8
	v_bfi_b32 v8, 0xffff, v9, v5
	v_bfi_b32 v5, 0xffff, v5, v9
	v_pk_mul_f16 v8, v8, 0.5 op_sel_hi:[1,0]
	v_pk_mul_f16 v5, v5, 0.5 op_sel_hi:[1,0]
	s_waitcnt vmcnt(1)
	v_pk_mul_f16 v10, v17, v8 op_sel_hi:[0,1]
	v_pk_fma_f16 v9, v17, v8, v5 op_sel:[1,0,0]
	v_pk_fma_f16 v11, v17, v8, v5 op_sel:[1,0,0] neg_lo:[1,0,0] neg_hi:[1,0,0]
	v_pk_fma_f16 v5, v17, v8, v5 op_sel:[1,0,0] neg_lo:[0,0,1] neg_hi:[0,0,1]
	v_pk_add_f16 v8, v9, v10 op_sel:[0,1] op_sel_hi:[1,0]
	v_pk_add_f16 v9, v9, v10 op_sel:[0,1] op_sel_hi:[1,0] neg_lo:[0,1] neg_hi:[0,1]
	v_pk_add_f16 v11, v11, v10 op_sel:[0,1] op_sel_hi:[1,0] neg_lo:[0,1] neg_hi:[0,1]
	;; [unrolled: 1-line block ×3, first 2 shown]
	v_bfi_b32 v8, 0xffff, v8, v9
	v_bfi_b32 v5, 0xffff, v11, v5
	ds_write_b32 v27, v8 offset:2772
	ds_write_b32 v1, v5 offset:4356
	ds_read_b32 v5, v27 offset:3168
	ds_read_b32 v8, v1 offset:3960
	s_waitcnt lgkmcnt(0)
	v_pk_add_f16 v9, v5, v8 neg_lo:[0,1] neg_hi:[0,1]
	v_pk_add_f16 v5, v5, v8
	v_bfi_b32 v8, 0xffff, v9, v5
	v_bfi_b32 v5, 0xffff, v5, v9
	v_pk_mul_f16 v8, v8, 0.5 op_sel_hi:[1,0]
	v_pk_mul_f16 v5, v5, 0.5 op_sel_hi:[1,0]
	s_waitcnt vmcnt(0)
	v_pk_mul_f16 v10, v4, v8 op_sel_hi:[0,1]
	v_pk_fma_f16 v9, v4, v8, v5 op_sel:[1,0,0]
	v_pk_fma_f16 v11, v4, v8, v5 op_sel:[1,0,0] neg_lo:[1,0,0] neg_hi:[1,0,0]
	v_pk_fma_f16 v4, v4, v8, v5 op_sel:[1,0,0] neg_lo:[0,0,1] neg_hi:[0,0,1]
	v_pk_add_f16 v5, v9, v10 op_sel:[0,1] op_sel_hi:[1,0]
	v_pk_add_f16 v8, v9, v10 op_sel:[0,1] op_sel_hi:[1,0] neg_lo:[0,1] neg_hi:[0,1]
	v_pk_add_f16 v9, v11, v10 op_sel:[0,1] op_sel_hi:[1,0] neg_lo:[0,1] neg_hi:[0,1]
	;; [unrolled: 1-line block ×3, first 2 shown]
	v_bfi_b32 v5, 0xffff, v5, v8
	v_bfi_b32 v4, 0xffff, v9, v4
	ds_write_b32 v27, v5 offset:3168
	ds_write_b32 v1, v4 offset:3960
	s_waitcnt lgkmcnt(0)
	s_barrier
	buffer_gl0_inv
	s_and_saveexec_b32 s0, vcc_lo
	s_cbranch_execz .LBB0_22
; %bb.20:
	v_add_nc_u32_e32 v1, 0x200, v27
	ds_read2_b32 v[4:5], v27 offset1:99
	v_add_nc_u32_e32 v10, 0x400, v27
	v_add_nc_u32_e32 v14, 0xc00, v27
	;; [unrolled: 1-line block ×3, first 2 shown]
	ds_read2_b32 v[8:9], v1 offset0:70 offset1:169
	v_add_co_u32 v1, vcc_lo, s2, v2
	ds_read2_b32 v[10:11], v10 offset0:140 offset1:239
	v_add_co_ci_u32_e32 v2, vcc_lo, s3, v3, vcc_lo
	v_add_nc_u32_e32 v3, 0x800, v27
	v_add_nc_u32_e32 v18, 0x1200, v27
	v_add_co_u32 v6, vcc_lo, v1, v6
	v_add_co_ci_u32_e32 v7, vcc_lo, v2, v7, vcc_lo
	ds_read2_b32 v[12:13], v3 offset0:82 offset1:181
	ds_read2_b32 v[14:15], v14 offset0:24 offset1:123
	;; [unrolled: 1-line block ×4, first 2 shown]
	v_add_nc_u32_e32 v20, 0x1400, v27
	v_add_co_u32 v3, vcc_lo, 0x800, v6
	s_waitcnt lgkmcnt(6)
	global_store_dword v[6:7], v4, off
	global_store_dword v[6:7], v5, off offset:396
	s_waitcnt lgkmcnt(5)
	global_store_dword v[6:7], v8, off offset:792
	global_store_dword v[6:7], v9, off offset:1188
	v_add_nc_u32_e32 v5, 0x1800, v27
	ds_read2_b32 v[8:9], v20 offset0:106 offset1:205
	v_add_co_ci_u32_e32 v4, vcc_lo, 0, v7, vcc_lo
	s_waitcnt lgkmcnt(5)
	global_store_dword v[6:7], v10, off offset:1584
	global_store_dword v[6:7], v11, off offset:1980
	ds_read2_b32 v[10:11], v5 offset0:48 offset1:147
	v_add_co_u32 v20, vcc_lo, 0x1000, v6
	v_add_co_ci_u32_e32 v21, vcc_lo, 0, v7, vcc_lo
	s_waitcnt lgkmcnt(5)
	global_store_dword v[3:4], v12, off offset:328
	global_store_dword v[3:4], v13, off offset:724
	s_waitcnt lgkmcnt(4)
	global_store_dword v[3:4], v14, off offset:1120
	global_store_dword v[3:4], v15, off offset:1516
	;; [unrolled: 3-line block ×3, first 2 shown]
	s_waitcnt lgkmcnt(2)
	global_store_dword v[20:21], v18, off offset:656
	v_add_co_u32 v3, vcc_lo, 0x1800, v6
	v_add_co_ci_u32_e32 v4, vcc_lo, 0, v7, vcc_lo
	v_cmp_eq_u32_e32 vcc_lo, 0x62, v0
	global_store_dword v[20:21], v19, off offset:1052
	s_waitcnt lgkmcnt(1)
	global_store_dword v[20:21], v8, off offset:1448
	global_store_dword v[20:21], v9, off offset:1844
	s_waitcnt lgkmcnt(0)
	global_store_dword v[3:4], v10, off offset:192
	global_store_dword v[3:4], v11, off offset:588
	s_and_b32 exec_lo, exec_lo, vcc_lo
	s_cbranch_execz .LBB0_22
; %bb.21:
	v_mov_b32_e32 v0, 0
	ds_read_b32 v3, v0 offset:7128
	v_add_co_u32 v0, vcc_lo, 0x1800, v1
	v_add_co_ci_u32_e32 v1, vcc_lo, 0, v2, vcc_lo
	s_waitcnt lgkmcnt(0)
	global_store_dword v[0:1], v3, off offset:984
.LBB0_22:
	s_endpgm
	.section	.rodata,"a",@progbits
	.p2align	6, 0x0
	.amdhsa_kernel fft_rtc_fwd_len1782_factors_11_3_3_3_3_2_wgs_99_tpt_99_halfLds_half_ip_CI_unitstride_sbrr_R2C_dirReg
		.amdhsa_group_segment_fixed_size 0
		.amdhsa_private_segment_fixed_size 0
		.amdhsa_kernarg_size 88
		.amdhsa_user_sgpr_count 6
		.amdhsa_user_sgpr_private_segment_buffer 1
		.amdhsa_user_sgpr_dispatch_ptr 0
		.amdhsa_user_sgpr_queue_ptr 0
		.amdhsa_user_sgpr_kernarg_segment_ptr 1
		.amdhsa_user_sgpr_dispatch_id 0
		.amdhsa_user_sgpr_flat_scratch_init 0
		.amdhsa_user_sgpr_private_segment_size 0
		.amdhsa_wavefront_size32 1
		.amdhsa_uses_dynamic_stack 0
		.amdhsa_system_sgpr_private_segment_wavefront_offset 0
		.amdhsa_system_sgpr_workgroup_id_x 1
		.amdhsa_system_sgpr_workgroup_id_y 0
		.amdhsa_system_sgpr_workgroup_id_z 0
		.amdhsa_system_sgpr_workgroup_info 0
		.amdhsa_system_vgpr_workitem_id 0
		.amdhsa_next_free_vgpr 93
		.amdhsa_next_free_sgpr 21
		.amdhsa_reserve_vcc 1
		.amdhsa_reserve_flat_scratch 0
		.amdhsa_float_round_mode_32 0
		.amdhsa_float_round_mode_16_64 0
		.amdhsa_float_denorm_mode_32 3
		.amdhsa_float_denorm_mode_16_64 3
		.amdhsa_dx10_clamp 1
		.amdhsa_ieee_mode 1
		.amdhsa_fp16_overflow 0
		.amdhsa_workgroup_processor_mode 1
		.amdhsa_memory_ordered 1
		.amdhsa_forward_progress 0
		.amdhsa_shared_vgpr_count 0
		.amdhsa_exception_fp_ieee_invalid_op 0
		.amdhsa_exception_fp_denorm_src 0
		.amdhsa_exception_fp_ieee_div_zero 0
		.amdhsa_exception_fp_ieee_overflow 0
		.amdhsa_exception_fp_ieee_underflow 0
		.amdhsa_exception_fp_ieee_inexact 0
		.amdhsa_exception_int_div_zero 0
	.end_amdhsa_kernel
	.text
.Lfunc_end0:
	.size	fft_rtc_fwd_len1782_factors_11_3_3_3_3_2_wgs_99_tpt_99_halfLds_half_ip_CI_unitstride_sbrr_R2C_dirReg, .Lfunc_end0-fft_rtc_fwd_len1782_factors_11_3_3_3_3_2_wgs_99_tpt_99_halfLds_half_ip_CI_unitstride_sbrr_R2C_dirReg
                                        ; -- End function
	.section	.AMDGPU.csdata,"",@progbits
; Kernel info:
; codeLenInByte = 15968
; NumSgprs: 23
; NumVgprs: 93
; ScratchSize: 0
; MemoryBound: 0
; FloatMode: 240
; IeeeMode: 1
; LDSByteSize: 0 bytes/workgroup (compile time only)
; SGPRBlocks: 2
; VGPRBlocks: 11
; NumSGPRsForWavesPerEU: 23
; NumVGPRsForWavesPerEU: 93
; Occupancy: 10
; WaveLimiterHint : 1
; COMPUTE_PGM_RSRC2:SCRATCH_EN: 0
; COMPUTE_PGM_RSRC2:USER_SGPR: 6
; COMPUTE_PGM_RSRC2:TRAP_HANDLER: 0
; COMPUTE_PGM_RSRC2:TGID_X_EN: 1
; COMPUTE_PGM_RSRC2:TGID_Y_EN: 0
; COMPUTE_PGM_RSRC2:TGID_Z_EN: 0
; COMPUTE_PGM_RSRC2:TIDIG_COMP_CNT: 0
	.text
	.p2alignl 6, 3214868480
	.fill 48, 4, 3214868480
	.type	__hip_cuid_e6f8a322ad93d676,@object ; @__hip_cuid_e6f8a322ad93d676
	.section	.bss,"aw",@nobits
	.globl	__hip_cuid_e6f8a322ad93d676
__hip_cuid_e6f8a322ad93d676:
	.byte	0                               ; 0x0
	.size	__hip_cuid_e6f8a322ad93d676, 1

	.ident	"AMD clang version 19.0.0git (https://github.com/RadeonOpenCompute/llvm-project roc-6.4.0 25133 c7fe45cf4b819c5991fe208aaa96edf142730f1d)"
	.section	".note.GNU-stack","",@progbits
	.addrsig
	.addrsig_sym __hip_cuid_e6f8a322ad93d676
	.amdgpu_metadata
---
amdhsa.kernels:
  - .args:
      - .actual_access:  read_only
        .address_space:  global
        .offset:         0
        .size:           8
        .value_kind:     global_buffer
      - .offset:         8
        .size:           8
        .value_kind:     by_value
      - .actual_access:  read_only
        .address_space:  global
        .offset:         16
        .size:           8
        .value_kind:     global_buffer
      - .actual_access:  read_only
        .address_space:  global
        .offset:         24
        .size:           8
        .value_kind:     global_buffer
      - .offset:         32
        .size:           8
        .value_kind:     by_value
      - .actual_access:  read_only
        .address_space:  global
        .offset:         40
        .size:           8
        .value_kind:     global_buffer
      - .actual_access:  read_only
        .address_space:  global
        .offset:         48
        .size:           8
        .value_kind:     global_buffer
      - .offset:         56
        .size:           4
        .value_kind:     by_value
      - .actual_access:  read_only
        .address_space:  global
        .offset:         64
        .size:           8
        .value_kind:     global_buffer
      - .actual_access:  read_only
        .address_space:  global
        .offset:         72
        .size:           8
        .value_kind:     global_buffer
      - .address_space:  global
        .offset:         80
        .size:           8
        .value_kind:     global_buffer
    .group_segment_fixed_size: 0
    .kernarg_segment_align: 8
    .kernarg_segment_size: 88
    .language:       OpenCL C
    .language_version:
      - 2
      - 0
    .max_flat_workgroup_size: 99
    .name:           fft_rtc_fwd_len1782_factors_11_3_3_3_3_2_wgs_99_tpt_99_halfLds_half_ip_CI_unitstride_sbrr_R2C_dirReg
    .private_segment_fixed_size: 0
    .sgpr_count:     23
    .sgpr_spill_count: 0
    .symbol:         fft_rtc_fwd_len1782_factors_11_3_3_3_3_2_wgs_99_tpt_99_halfLds_half_ip_CI_unitstride_sbrr_R2C_dirReg.kd
    .uniform_work_group_size: 1
    .uses_dynamic_stack: false
    .vgpr_count:     93
    .vgpr_spill_count: 0
    .wavefront_size: 32
    .workgroup_processor_mode: 1
amdhsa.target:   amdgcn-amd-amdhsa--gfx1030
amdhsa.version:
  - 1
  - 2
...

	.end_amdgpu_metadata
